;; amdgpu-corpus repo=ROCm/aiter kind=harvested arch=n/a opt=n/a

/root/src/amdgpu-assembly/repos/ROCm__aiter/hsa/gfx950/pa/pa_bf16_noquant_gqa8_1tg_4w.co:	file format elf64-amdgpu

Disassembly of section .text:

0000000000002200 <_ZN5aiter27pa_bf16_noquant_gqa8_1tg_4wE>:
	s_and_b32 s1, s1, 0xffff                                   // 000000002200: 8601FF01 0000FFFF
	s_load_dwordx2 s[8:9], s[0:1], 0x0                         // 000000002208: C0060200 00000000
	s_load_dwordx2 s[12:13], s[0:1], 0x10                      // 000000002210: C0060300 00000010
	s_load_dwordx2 s[16:17], s[0:1], 0x20                      // 000000002218: C0060400 00000020
	s_load_dwordx2 s[20:21], s[0:1], 0x30                      // 000000002220: C0060500 00000030
	s_load_dwordx2 s[24:25], s[0:1], 0x40                      // 000000002228: C0060600 00000040
	s_load_dwordx2 s[28:29], s[0:1], 0x50                      // 000000002230: C0060700 00000050
	s_load_dword s64, s[0:1], 0x80                             // 000000002238: C0021000 00000080
	s_load_dword s65, s[0:1], 0x90                             // 000000002240: C0021040 00000090
	s_load_dword s66, s[0:1], 0xa0                             // 000000002248: C0021080 000000A0
	s_load_dword s74, s[0:1], 0xb0                             // 000000002250: C0021280 000000B0
	s_load_dword s68, s[0:1], 0xc0                             // 000000002258: C0021100 000000C0
	s_load_dword s69, s[0:1], 0xd0                             // 000000002260: C0021140 000000D0
	s_load_dword s77, s[0:1], 0xe0                             // 000000002268: C0021340 000000E0
	v_lshrrev_b32_e32 v1, 10, v0                               // 000000002270: 2002008A
	v_lshrrev_b32_e32 v2, 10, v1                               // 000000002274: 2004028A
	v_and_b32_e32 v2, 0x3ff, v2                                // 000000002278: 260404FF 000003FF
	v_and_b32_e32 v1, 0x3ff, v1                                // 000000002280: 260202FF 000003FF
	v_and_b32_e32 v0, 0x3ff, v0                                // 000000002288: 260000FF 000003FF
	v_lshrrev_b32_e32 v3, 6, v0                                // 000000002290: 20060086
	v_and_b32_e32 v0, 63, v0                                   // 000000002294: 260000BF
	s_mov_b32 s2, s2                                           // 000000002298: BE820002
	s_mov_b32 s3, s3                                           // 00000000229C: BE830003
	s_mov_b32 s4, s4                                           // 0000000022A0: BE840004
	v_readfirstlane_b32 s7, v3                                 // 0000000022A4: 7E0E0503
	s_waitcnt lgkmcnt(0)                                       // 0000000022A8: BF8CC07F
	s_mul_i32 s67, 0x100, s77                                  // 0000000022AC: 92434DFF 00000100
	s_mul_i32 s76, 0x100, s77                                  // 0000000022B4: 924C4DFF 00000100
	s_mul_i32 s75, s66, s76                                    // 0000000022BC: 924B4C42
	s_mul_i32 s60, s3, 4                                       // 0000000022C0: 923C8403
	s_and_b32 s29, s29, 0xffff                                 // 0000000022C4: 861DFF1D 0000FFFF
	s_add_u32 s28, s60, s28                                    // 0000000022CC: 801C1C3C
	s_addc_u32 s29, 0, s29                                     // 0000000022D0: 821D1D80
	s_load_dword s72, s[28:29], 0x0                            // 0000000022D4: C002120E 00000000
	s_mov_b32 s10, s76                                         // 0000000022DC: BE8A004C
	s_mov_b32 s14, s67                                         // 0000000022E0: BE8E0043
	s_mul_i32 s60, 4, s65                                      // 0000000022E4: 923C4184
	s_mov_b32 s26, s60                                         // 0000000022E8: BE9A003C
	s_mov_b32 s18, 0x80000000                                  // 0000000022EC: BE9200FF 80000000
	s_mov_b32 s22, 0x80000000                                  // 0000000022F4: BE9600FF 80000000
	s_mov_b32 s11, 0x20000                                     // 0000000022FC: BE8B00FF 00020000
	s_mov_b32 s15, 0x20000                                     // 000000002304: BE8F00FF 00020000
	s_mov_b32 s19, 0x20000                                     // 00000000230C: BE9300FF 00020000
	s_mov_b32 s23, 0x20000                                     // 000000002314: BE9700FF 00020000
	s_mov_b32 s27, 0x20000                                     // 00000000231C: BE9B00FF 00020000
	s_and_b32 s9, s9, 0xffff                                   // 000000002324: 8609FF09 0000FFFF
	s_and_b32 s13, s13, 0xffff                                 // 00000000232C: 860DFF0D 0000FFFF
	s_and_b32 s17, s17, 0xffff                                 // 000000002334: 8611FF11 0000FFFF
	s_and_b32 s21, s21, 0xffff                                 // 00000000233C: 8615FF15 0000FFFF
	s_and_b32 s25, s25, 0xffff                                 // 000000002344: 8619FF19 0000FFFF
	s_or_b32 s9, s9, 0x40000                                   // 00000000234C: 8709FF09 00040000
	s_or_b32 s13, s13, 0x40000                                 // 000000002354: 870DFF0D 00040000
	s_or_b32 s17, s17, 0x40000                                 // 00000000235C: 8711FF11 00040000
	s_or_b32 s21, s21, 0x40000                                 // 000000002364: 8715FF15 00040000
	s_or_b32 s25, s25, 0x40000                                 // 00000000236C: 8719FF19 00040000
	v_accvgpr_write_b32 a255, 0                                // 000000002374: D3D940FF 18000080
	v_mov_b32_e32 v151, 0                                      // 00000000237C: 7F2E0280
	s_mul_i32 s60, s3, s65                                     // 000000002380: 923C4103
	s_mul_i32 s60, s60, 4                                      // 000000002384: 923C843C
	s_add_u32 s24, s60, s24                                    // 000000002388: 8018183C
	s_addc_u32 s25, 0, s25                                     // 00000000238C: 82191980
	s_mov_b32 s56, 64                                          // 000000002390: BEB800C0
	s_waitcnt lgkmcnt(0)                                       // 000000002394: BF8CC07F
	s_add_u32 s73, s72, 15                                     // 000000002398: 80498F48
	s_lshr_b32 s73, s73, 4                                     // 00000000239C: 8F498449
	s_mul_i32 s60, s73, 4                                      // 0000000023A0: 923C8449
	s_mov_b32 s26, s60                                         // 0000000023A4: BE9A003C
	v_and_b32_e32 v39, 3, v0                                   // 0000000023A8: 264E0083
	v_cmp_eq_u32_e64 s[60:61], 0, v39                          // 0000000023AC: D0CA003C 00024E80
	v_and_b32_e32 v38, 12, v0                                  // 0000000023B4: 264C008C
	v_add_u32_e32 v1, s7, v38                                  // 0000000023B8: 68024C07
	v_cndmask_b32_e64 v1, 0, v1, s[60:61]                      // 0000000023BC: D1000001 00F20280
	v_and_b32_e32 v39, 3, v0                                   // 0000000023C4: 264E0083
	v_cmp_eq_u32_e64 s[60:61], 0, v39                          // 0000000023C8: D0CA003C 00024E80
	v_lshrrev_b32_e32 v38, 5, v0                               // 0000000023D0: 204C0085
	v_and_b32_e32 v39, 14, v0                                  // 0000000023D4: 264E008E
	v_add_u32_e32 v38, v39, v38                                // 0000000023D8: 684C4D27
	v_cndmask_b32_e64 v38, v38, 0, s[60:61]                    // 0000000023DC: D1000026 00F10126
	v_add_u32_e32 v1, v1, v38                                  // 0000000023E4: 68024D01
	v_lshlrev_b32_e32 v1, 2, v1                                // 0000000023E8: 24020282
	v_writelane_b32 v1, 56, 7                                  // 0000000023EC: D28A0001 00010EB8
	v_writelane_b32 v1, 56, 23                                 // 0000000023F4: D28A0001 00012EB8
	v_writelane_b32 v1, 60, 39                                 // 0000000023FC: D28A0001 00014EBC
	v_writelane_b32 v1, 60, 55                                 // 000000002404: D28A0001 00016EBC
	buffer_load_dword v16, v1, s[24:27], 0 offen               // 00000000240C: E0501000 80061001
	v_add_u32_e32 v1, s56, v1                                  // 000000002414: 68020238
	buffer_load_dword v17, v1, s[24:27], 0 offen               // 000000002418: E0501000 80061101
	s_cmp_le_u32 s73, 32                                       // 000000002420: BF0BA049
	s_cselect_b32 s56, 0, s56                                  // 000000002424: 85383880
	s_mul_i32 s61, s2, s67                                     // 000000002428: 923D4302
	s_mul_i32 s60, s3, s74                                     // 00000000242C: 923C4A03
	s_add_u32 s60, s60, s61                                    // 000000002430: 803C3D3C
	s_add_u32 s12, s60, s12                                    // 000000002434: 800C0C3C
	s_addc_u32 s13, 0, s13                                     // 000000002438: 820D0D80
	s_mul_i32 s60, s7, 0x420                                   // 00000000243C: 923CFF07 00000420
	s_add_u32 m0, 0, s60                                       // 000000002444: 807C3C80
	s_mul_i32 s60, s7, 0x100                                   // 000000002448: 923CFF07 00000100
	v_lshlrev_b32_e32 v38, 2, v0                               // 000000002450: 244C0082
	v_add_u32_e64 v38, v38, s60                                // 000000002454: D1340026 00007926
	buffer_load_dword v38, s[12:15], 0 offen lds               // 00000000245C: E0511000 80030026
	s_add_u32 m0, m0, 0x100                                    // 000000002464: 807CFF7C 00000100
	v_add_u32_e32 v38, 0x400, v38                              // 00000000246C: 684C4CFF 00000400
	buffer_load_dword v38, s[12:15], 0 offen lds               // 000000002474: E0511000 80030026
	s_add_u32 m0, m0, 0x100                                    // 00000000247C: 807CFF7C 00000100
	v_add_u32_e32 v38, 0x400, v38                              // 000000002484: 684C4CFF 00000400
	s_mul_i32 s60, s7, 0x420                                   // 00000000248C: 923CFF07 00000420
	v_lshlrev_b32_e32 v38, 2, v0                               // 000000002494: 244C0082
	v_add_u32_e64 v38, v38, s60                                // 000000002498: D1340026 00007926
	v_mov_b32_e32 v39, 0                                       // 0000000024A0: 7E4E0280
	ds_write_b32 v38, v39 offset:512                           // 0000000024A4: D81A0200 00002726
	ds_write_b32 v38, v39 offset:768                           // 0000000024AC: D81A0300 00002726
	s_mul_i32 s61, s2, s76                                     // 0000000024B4: 923D4C02
	s_mul_i32 s60, s3, s75                                     // 0000000024B8: 923C4B03
	s_add_u32 s60, s60, s61                                    // 0000000024BC: 803C3D3C
	s_add_u32 s8, s60, s8                                      // 0000000024C0: 8008083C
	s_addc_u32 s9, 0, s9                                       // 0000000024C4: 82090980
	s_mul_i32 s60, s7, 0x100                                   // 0000000024C8: 923CFF07 00000100
	v_lshlrev_b32_e32 v8, 2, v0                                // 0000000024D0: 24100082
	v_add_u32_e64 v8, v8, s60                                  // 0000000024D4: D1340008 00007908
	s_mov_b32 s70, 0                                           // 0000000024DC: BEC60080
	s_and_b32 s71, s72, 0xffffff00                             // 0000000024E0: 8647FF48 FFFFFF00
	v_mov_b32_e32 v51, s68                                     // 0000000024E8: 7E660244
	v_mov_b32_e32 v9, -1                                       // 0000000024EC: 7E1202C1
	s_mov_b32 s52, 0x7060302                                   // 0000000024F0: BEB400FF 07060302
	s_mov_b32 s53, 0x400                                       // 0000000024F8: BEB500FF 00000400
	s_mov_b32 s54, 0x40100                                     // 000000002500: BEB600FF 00040100
	s_mov_b32 s55, 0x4020100                                   // 000000002508: BEB700FF 04020100
	v_mov_b32_dpp v9, v9 row_shl:8 row_mask:0xf bank_mask:0xf bound_ctrl:1// 000000002510: 7E1202FA FF090809
	s_mov_b32 s6, 0x3fb8aa3b                                   // 000000002518: BE8600FF 3FB8AA3B
	v_mov_b32_e32 v14, 0xff800000                              // 000000002520: 7E1C02FF FF800000
	v_mov_b32_e32 v52, 0xff800000                              // 000000002528: 7E6802FF FF800000
	v_mov_b32_e32 v49, 0                                       // 000000002530: 7E620280
	v_mov_b32_e32 v42, 0                                       // 000000002534: 7E540280
	v_mov_b32_e32 v19, 0xffff0000                              // 000000002538: 7E2602FF FFFF0000
	v_mov_b32_e32 v20, 0x7fff0000                              // 000000002540: 7E2802FF 7FFF0000
	v_mov_b32_e32 v21, 0x7fff                                  // 000000002548: 7E2A02FF 00007FFF
	v_add_u32_e32 v1, s56, v1                                  // 000000002550: 68020238
	v_and_b32_e32 v10, 15, v0                                  // 000000002554: 2614008F
	v_lshlrev_b32_e32 v10, 2, v10                              // 000000002558: 24141482
	v_lshlrev_b32_e32 v11, 2, v0                               // 00000000255C: 24160082
	s_mul_i32 s60, 0x100, s7                                   // 000000002560: 923C07FF 00000100
	v_add_u32_e32 v11, s60, v11                                // 000000002568: 6816163C
	v_lshrrev_b32_e32 v38, 4, v0                               // 00000000256C: 204C0084
	v_lshlrev_b32_e32 v39, 6, v38                              // 000000002570: 244E4C86
	v_and_b32_e32 v38, 15, v0                                  // 000000002574: 264C008F
	v_lshlrev_b32_e32 v38, 1, v38                              // 000000002578: 244C4C81
	v_add_u32_e32 v39, v38, v39                                // 00000000257C: 684E4F26
	v_lshlrev_b32_e32 v12, 2, v39                              // 000000002580: 24184E82
	v_lshlrev_b32_e32 v38, 3, v0                               // 000000002584: 244C0083
	s_mul_i32 s60, 0x200, s7                                   // 000000002588: 923C07FF 00000200
	v_add_u32_e64 v13, v38, s60                                // 000000002590: D134000D 00007926
	v_lshlrev_b32_e32 v6, 4, v0                                // 000000002598: 240C0084
	s_mul_i32 s60, s2, s69                                     // 00000000259C: 923C4502
	s_add_u32 s16, s60, s16                                    // 0000000025A0: 8010103C
	s_addc_u32 s17, 0, s17                                     // 0000000025A4: 82111180
	v_and_b32_e32 v38, 15, v0                                  // 0000000025A8: 264C008F
	v_lshlrev_b32_e32 v7, 4, v38                               // 0000000025AC: 240E4C84
	v_and_b32_e32 v38, 31, v0                                  // 0000000025B0: 264C009F
	v_lshrrev_b32_e32 v38, 4, v38                              // 0000000025B4: 204C4C84
	v_mul_i32_i24_e32 v38, 0x800, v38                          // 0000000025B8: 0C4C4CFF 00000800
	v_add_u32_e32 v7, v38, v7                                  // 0000000025C0: 680E0F26
	s_mul_i32 s61, s2, s69                                     // 0000000025C4: 923D4502
	s_mul_i32 s60, s7, 0x100                                   // 0000000025C8: 923CFF07 00000100
	s_add_u32 s60, s60, s61                                    // 0000000025D0: 803C3D3C
	s_add_u32 s20, s60, s20                                    // 0000000025D4: 8014143C
	s_addc_u32 s21, 0, s21                                     // 0000000025D8: 82151580
	s_waitcnt vmcnt(2)                                         // 0000000025DC: BF8C0F72
	v_mul_u32_u24_dpp v38, v16, v51 row_newbcast:0 row_mask:0xf bank_mask:0xf// 0000000025E0: 104C66FA FF015010
	v_mul_u32_u24_dpp v39, v16, v51 row_newbcast:4 row_mask:0xf bank_mask:0xf// 0000000025E8: 104E66FA FF015410
	v_mul_u32_u24_dpp v40, v16, v51 row_newbcast:8 row_mask:0xf bank_mask:0xf// 0000000025F0: 105066FA FF015810
	v_mul_u32_u24_dpp v41, v16, v51 row_newbcast:12 row_mask:0xf bank_mask:0xf// 0000000025F8: 105266FA FF015C10
	v_add_u32_e32 v22, v38, v6                                 // 000000002600: 682C0D26
	v_add_u32_e32 v23, v39, v6                                 // 000000002604: 682E0D27
	v_add_u32_e32 v24, v40, v6                                 // 000000002608: 68300D28
	v_add_u32_e32 v25, v41, v6                                 // 00000000260C: 68320D29
	v_mul_u32_u24_dpp v38, v16, v51 row_newbcast:1 row_mask:0xf bank_mask:0xf// 000000002610: 104C66FA FF015110
	v_mul_u32_u24_dpp v39, v16, v51 row_newbcast:2 row_mask:0xf bank_mask:0xf// 000000002618: 104E66FA FF015210
	v_mul_u32_u24_dpp v40, v16, v51 row_newbcast:5 row_mask:0xf bank_mask:0xf// 000000002620: 105066FA FF015510
	v_mul_u32_u24_dpp v41, v16, v51 row_newbcast:6 row_mask:0xf bank_mask:0xf// 000000002628: 105266FA FF015610
	v_add_u32_e32 v136, v38, v7                                // 000000002630: 69100F26
	v_add_u32_e32 v137, v39, v7                                // 000000002634: 69120F27
	v_add_u32_e32 v138, v40, v7                                // 000000002638: 69140F28
	v_add_u32_e32 v139, v41, v7                                // 00000000263C: 69160F29
	v_mul_u32_u24_dpp v38, v16, v51 row_newbcast:9 row_mask:0xf bank_mask:0xf// 000000002640: 104C66FA FF015910
	v_mul_u32_u24_dpp v39, v16, v51 row_newbcast:10 row_mask:0xf bank_mask:0xf// 000000002648: 104E66FA FF015A10
	v_mul_u32_u24_dpp v40, v16, v51 row_newbcast:13 row_mask:0xf bank_mask:0xf// 000000002650: 105066FA FF015D10
	v_mul_u32_u24_dpp v41, v16, v51 row_newbcast:7 row_mask:0xf bank_mask:0xf// 000000002658: 105266FA FF015710
	v_add_u32_e32 v140, v38, v7                                // 000000002660: 69180F26
	v_add_u32_e32 v141, v39, v7                                // 000000002664: 691A0F27
	v_add_u32_e32 v142, v40, v7                                // 000000002668: 691C0F28
	v_add_u32_e32 v143, v41, v7                                // 00000000266C: 691E0F29
	buffer_load_dwordx4 a[0:3], v22, s[16:19], 0 offen         // 000000002670: E05C1000 80840016
	buffer_load_dwordx4 a[4:7], v22, s[16:19], 0 offen offset:1024// 000000002678: E05C1400 80840416
	buffer_load_dwordx4 a[8:11], v22, s[16:19], 0 offen offset:2048// 000000002680: E05C1800 80840816
	buffer_load_dwordx4 a[12:15], v22, s[16:19], 0 offen offset:3072// 000000002688: E05C1C00 80840C16
	buffer_load_dwordx4 a[16:19], v23, s[16:19], 0 offen       // 000000002690: E05C1000 80841017
	buffer_load_dwordx4 a[20:23], v23, s[16:19], 0 offen offset:1024// 000000002698: E05C1400 80841417
	buffer_load_dwordx4 a[24:27], v23, s[16:19], 0 offen offset:2048// 0000000026A0: E05C1800 80841817
	buffer_load_dwordx4 a[28:31], v23, s[16:19], 0 offen offset:3072// 0000000026A8: E05C1C00 80841C17
	buffer_load_dwordx4 a[32:35], v24, s[16:19], 0 offen       // 0000000026B0: E05C1000 80842018
	buffer_load_dwordx4 a[36:39], v24, s[16:19], 0 offen offset:1024// 0000000026B8: E05C1400 80842418
	buffer_load_dwordx4 a[40:43], v24, s[16:19], 0 offen offset:2048// 0000000026C0: E05C1800 80842818
	buffer_load_dwordx4 a[44:47], v24, s[16:19], 0 offen offset:3072// 0000000026C8: E05C1C00 80842C18
	buffer_load_dwordx4 a[48:51], v25, s[16:19], 0 offen       // 0000000026D0: E05C1000 80843019
	buffer_load_dwordx4 a[52:55], v25, s[16:19], 0 offen offset:1024// 0000000026D8: E05C1400 80843419
	buffer_load_dwordx4 a[56:59], v25, s[16:19], 0 offen offset:2048// 0000000026E0: E05C1800 80843819
	buffer_load_dwordx4 a[60:63], v25, s[16:19], 0 offen offset:3072// 0000000026E8: E05C1C00 80843C19
	buffer_load_dwordx4 a[128:131], v136, s[20:23], 0 offen    // 0000000026F0: E05C1000 80858088
	buffer_load_dwordx4 a[132:135], v137, s[20:23], 0 offen    // 0000000026F8: E05C1000 80858489
	buffer_load_dwordx4 a[136:139], v138, s[20:23], 0 offen    // 000000002700: E05C1000 8085888A
	buffer_load_dwordx4 a[140:143], v139, s[20:23], 0 offen    // 000000002708: E05C1000 80858C8B
	buffer_load_dwordx4 a[144:147], v140, s[20:23], 0 offen    // 000000002710: E05C1000 8085908C
	buffer_load_dwordx4 a[148:151], v141, s[20:23], 0 offen    // 000000002718: E05C1000 8085948D
	buffer_load_dwordx4 a[152:155], v142, s[20:23], 0 offen    // 000000002720: E05C1000 8085988E
	buffer_load_dwordx4 a[156:159], v143, s[20:23], 0 offen    // 000000002728: E05C1000 80859C8F
	buffer_load_dwordx4 a[160:163], v136, s[20:23], 0 offen offset:1024// 000000002730: E05C1400 8085A088
	buffer_load_dwordx4 a[164:167], v137, s[20:23], 0 offen offset:1024// 000000002738: E05C1400 8085A489
	buffer_load_dwordx4 a[168:171], v138, s[20:23], 0 offen offset:1024// 000000002740: E05C1400 8085A88A
	buffer_load_dwordx4 a[172:175], v139, s[20:23], 0 offen offset:1024// 000000002748: E05C1400 8085AC8B
	buffer_load_dwordx4 a[176:179], v140, s[20:23], 0 offen offset:1024// 000000002750: E05C1400 8085B08C
	buffer_load_dwordx4 a[180:183], v141, s[20:23], 0 offen offset:1024// 000000002758: E05C1400 8085B48D
	buffer_load_dwordx4 a[184:187], v142, s[20:23], 0 offen offset:1024// 000000002760: E05C1400 8085B88E
	buffer_load_dwordx4 a[188:191], v143, s[20:23], 0 offen offset:1024// 000000002768: E05C1400 8085BC8F
	v_lshrrev_b32_e32 v38, 4, v0                               // 000000002770: 204C0084
	v_lshlrev_b32_e32 v39, 2, v38                              // 000000002774: 244E4C82
	v_and_b32_e32 v38, 15, v0                                  // 000000002778: 264C008F
	v_lshrrev_b32_e32 v40, 2, v38                              // 00000000277C: 20504C82
	v_lshlrev_b32_e32 v40, 6, v40                              // 000000002780: 24505086
	v_add_u32_e32 v39, v40, v39                                // 000000002784: 684E4F28
	v_and_b32_e32 v38, 3, v0                                   // 000000002788: 264C0083
	v_mul_i32_i24_e32 v40, 0x108, v38                          // 00000000278C: 0C504CFF 00000108
	v_add_u32_e32 v39, v40, v39                                // 000000002794: 684E4F28
	v_lshlrev_b32_e32 v4, 2, v39                               // 000000002798: 24084E82
	s_waitcnt vmcnt(32) lgkmcnt(0)                             // 00000000279C: BF8C8070
	s_barrier                                                  // 0000000027A0: BF8A0000
	ds_read_b128 v[80:83], v4                                  // 0000000027A4: D9FE0000 50000004
	ds_read_b128 v[84:87], v4 offset:64                        // 0000000027AC: D9FE0040 54000004
	ds_read_b128 v[88:91], v4 offset:128                       // 0000000027B4: D9FE0080 58000004
	ds_read_b128 v[92:95], v4 offset:192                       // 0000000027BC: D9FE00C0 5C000004
	v_mov_b32_e32 v128, 0                                      // 0000000027C4: 7F000280
	v_mov_b32_e32 v129, 0                                      // 0000000027C8: 7F020280
	v_mov_b32_e32 v130, 0                                      // 0000000027CC: 7F040280
	v_mov_b32_e32 v131, 0                                      // 0000000027D0: 7F060280
	v_mov_b32_e32 v132, 0                                      // 0000000027D4: 7F080280
	v_mov_b32_e32 v133, 0                                      // 0000000027D8: 7F0A0280
	v_mov_b32_e32 v134, 0                                      // 0000000027DC: 7F0C0280
	v_mov_b32_e32 v135, 0                                      // 0000000027E0: 7F0E0280
	s_waitcnt vmcnt(16) lgkmcnt(0)                             // 0000000027E4: BF8C4070
	s_barrier                                                  // 0000000027E8: BF8A0000
	v_mul_u32_u24_dpp v38, v17, v51 row_newbcast:0 row_mask:0xf bank_mask:0xf// 0000000027EC: 104C66FA FF015011
	v_mul_u32_u24_dpp v39, v17, v51 row_newbcast:4 row_mask:0xf bank_mask:0xf// 0000000027F4: 104E66FA FF015411
	v_mul_u32_u24_dpp v40, v17, v51 row_newbcast:8 row_mask:0xf bank_mask:0xf// 0000000027FC: 105066FA FF015811
	v_mul_u32_u24_dpp v41, v17, v51 row_newbcast:12 row_mask:0xf bank_mask:0xf// 000000002804: 105266FA FF015C11
	v_add_u32_e32 v26, v38, v6                                 // 00000000280C: 68340D26
	v_add_u32_e32 v27, v39, v6                                 // 000000002810: 68360D27
	v_add_u32_e32 v28, v40, v6                                 // 000000002814: 68380D28
	v_add_u32_e32 v29, v41, v6                                 // 000000002818: 683A0D29
	v_mul_u32_u24_dpp v38, v17, v51 row_newbcast:1 row_mask:0xf bank_mask:0xf// 00000000281C: 104C66FA FF015111
	v_mul_u32_u24_dpp v39, v17, v51 row_newbcast:2 row_mask:0xf bank_mask:0xf// 000000002824: 104E66FA FF015211
	v_mul_u32_u24_dpp v40, v17, v51 row_newbcast:5 row_mask:0xf bank_mask:0xf// 00000000282C: 105066FA FF015511
	v_mul_u32_u24_dpp v41, v17, v51 row_newbcast:6 row_mask:0xf bank_mask:0xf// 000000002834: 105266FA FF015611
	v_add_u32_e32 v144, v38, v7                                // 00000000283C: 69200F26
	v_add_u32_e32 v145, v39, v7                                // 000000002840: 69220F27
	v_add_u32_e32 v146, v40, v7                                // 000000002844: 69240F28
	v_add_u32_e32 v147, v41, v7                                // 000000002848: 69260F29
	v_mul_u32_u24_dpp v38, v17, v51 row_newbcast:9 row_mask:0xf bank_mask:0xf// 00000000284C: 104C66FA FF015911
	v_mul_u32_u24_dpp v39, v17, v51 row_newbcast:10 row_mask:0xf bank_mask:0xf// 000000002854: 104E66FA FF015A11
	v_mul_u32_u24_dpp v40, v17, v51 row_newbcast:13 row_mask:0xf bank_mask:0xf// 00000000285C: 105066FA FF015D11
	v_mul_u32_u24_dpp v41, v17, v51 row_newbcast:7 row_mask:0xf bank_mask:0xf// 000000002864: 105266FA FF015711
	v_add_u32_e32 v148, v38, v7                                // 00000000286C: 69280F26
	v_add_u32_e32 v149, v39, v7                                // 000000002870: 692A0F27
	v_add_u32_e32 v150, v40, v7                                // 000000002874: 692C0F28
	v_add_u32_e32 v151, v41, v7                                // 000000002878: 692E0F29
	s_cmp_lt_u32 s73, 16                                       // 00000000287C: BF0A9049
	s_cbranch_scc1 label_0B16                                  // 000000002880: BF850974
	s_cmp_lt_i32 s7, 2                                         // 000000002884: BF048207
	s_cbranch_scc0 label_0593                                  // 000000002888: BF8403F0

000000000000288c <label_01A3>:
	s_waitcnt vmcnt(16) lgkmcnt(0)                             // 00000000288C: BF8C4070
	v_mfma_f32_16x16x16_bf16 v[96:99], a[0:1], v[80:81], 0     // 000000002890: D3E10060 0A02A100
	v_mfma_f32_16x16x16_bf16 v[96:99], a[2:3], v[82:83], v[96:99]// 000000002898: D3E10060 0D82A502
	buffer_load_dwordx4 a[64:67], v26, s[16:19], 0 offen       // 0000000028A0: E05C1000 8084401A
	v_mfma_f32_16x16x16_bf16 v[96:99], a[4:5], v[84:85], v[96:99]// 0000000028A8: D3E10060 0D82A904
	v_mfma_f32_16x16x16_bf16 v[96:99], a[6:7], v[86:87], v[96:99]// 0000000028B0: D3E10060 0D82AD06
	buffer_load_dword v16, v1, s[24:27], 0 offen               // 0000000028B8: E0501000 80061001
	v_mfma_f32_16x16x16_bf16 v[96:99], a[8:9], v[88:89], v[96:99]// 0000000028C0: D3E10060 0D82B108
	v_mfma_f32_16x16x16_bf16 v[96:99], a[10:11], v[90:91], v[96:99]// 0000000028C8: D3E10060 0D82B50A
	buffer_load_dwordx4 a[68:71], v26, s[16:19], 0 offen offset:1024// 0000000028D0: E05C1400 8084441A
	v_mfma_f32_16x16x16_bf16 v[96:99], a[12:13], v[92:93], v[96:99]// 0000000028D8: D3E10060 0D82B90C
	v_mfma_f32_16x16x16_bf16 v[96:99], a[14:15], v[94:95], v[96:99]// 0000000028E0: D3E10060 0D82BD0E
	v_mfma_f32_16x16x16_bf16 v[100:103], a[16:17], v[80:81], 0 // 0000000028E8: D3E10064 0A02A110
	v_mfma_f32_16x16x16_bf16 v[100:103], a[18:19], v[82:83], v[100:103]// 0000000028F0: D3E10064 0D92A512
	buffer_load_dwordx4 a[72:75], v26, s[16:19], 0 offen offset:2048// 0000000028F8: E05C1800 8084481A
	v_mfma_f32_16x16x16_bf16 v[100:103], a[20:21], v[84:85], v[100:103]// 000000002900: D3E10064 0D92A914
	v_mfma_f32_16x16x16_bf16 v[100:103], a[22:23], v[86:87], v[100:103]// 000000002908: D3E10064 0D92AD16
	v_mfma_f32_16x16x16_bf16 v[100:103], a[24:25], v[88:89], v[100:103]// 000000002910: D3E10064 0D92B118
	v_mfma_f32_16x16x16_bf16 v[100:103], a[26:27], v[90:91], v[100:103]// 000000002918: D3E10064 0D92B51A
	buffer_load_dwordx4 a[76:79], v26, s[16:19], 0 offen offset:3072// 000000002920: E05C1C00 80844C1A
	v_mfma_f32_16x16x16_bf16 v[100:103], a[28:29], v[92:93], v[100:103]// 000000002928: D3E10064 0D92B91C
	v_mfma_f32_16x16x16_bf16 v[100:103], a[30:31], v[94:95], v[100:103]// 000000002930: D3E10064 0D92BD1E
	v_mfma_f32_16x16x16_bf16 v[104:107], a[32:33], v[80:81], 0 // 000000002938: D3E10068 0A02A120
	v_mfma_f32_16x16x16_bf16 v[104:107], a[34:35], v[82:83], v[104:107]// 000000002940: D3E10068 0DA2A522
	buffer_load_dwordx4 a[80:83], v27, s[16:19], 0 offen       // 000000002948: E05C1000 8084501B
	v_mfma_f32_16x16x16_bf16 v[104:107], a[36:37], v[84:85], v[104:107]// 000000002950: D3E10068 0DA2A924
	v_mfma_f32_16x16x16_bf16 v[104:107], a[38:39], v[86:87], v[104:107]// 000000002958: D3E10068 0DA2AD26
	v_mfma_f32_16x16x16_bf16 v[104:107], a[40:41], v[88:89], v[104:107]// 000000002960: D3E10068 0DA2B128
	v_mfma_f32_16x16x16_bf16 v[104:107], a[42:43], v[90:91], v[104:107]// 000000002968: D3E10068 0DA2B52A
	buffer_load_dwordx4 a[84:87], v27, s[16:19], 0 offen offset:1024// 000000002970: E05C1400 8084541B
	v_mfma_f32_16x16x16_bf16 v[104:107], a[44:45], v[92:93], v[104:107]// 000000002978: D3E10068 0DA2B92C
	v_mfma_f32_16x16x16_bf16 v[104:107], a[46:47], v[94:95], v[104:107]// 000000002980: D3E10068 0DA2BD2E
	v_mfma_f32_16x16x16_bf16 v[108:111], a[48:49], v[80:81], 0 // 000000002988: D3E1006C 0A02A130
	v_mfma_f32_16x16x16_bf16 v[108:111], a[50:51], v[82:83], v[108:111]// 000000002990: D3E1006C 0DB2A532
	buffer_load_dwordx4 a[88:91], v27, s[16:19], 0 offen offset:2048// 000000002998: E05C1800 8084581B
	v_mfma_f32_16x16x16_bf16 v[108:111], a[52:53], v[84:85], v[108:111]// 0000000029A0: D3E1006C 0DB2A934
	v_mfma_f32_16x16x16_bf16 v[108:111], a[54:55], v[86:87], v[108:111]// 0000000029A8: D3E1006C 0DB2AD36
	v_mfma_f32_16x16x16_bf16 v[108:111], a[56:57], v[88:89], v[108:111]// 0000000029B0: D3E1006C 0DB2B138
	v_mfma_f32_16x16x16_bf16 v[108:111], a[58:59], v[90:91], v[108:111]// 0000000029B8: D3E1006C 0DB2B53A
	buffer_load_dwordx4 a[92:95], v27, s[16:19], 0 offen offset:3072// 0000000029C0: E05C1C00 80845C1B
	v_mfma_f32_16x16x16_bf16 v[108:111], a[60:61], v[92:93], v[108:111]// 0000000029C8: D3E1006C 0DB2B93C
	v_mfma_f32_16x16x16_bf16 v[108:111], a[62:63], v[94:95], v[108:111]// 0000000029D0: D3E1006C 0DB2BD3E
	buffer_load_dwordx4 a[96:99], v28, s[16:19], 0 offen       // 0000000029D8: E05C1000 8084601C
	s_nop 8                                                    // 0000000029E0: BF800008
	v_or_b32_dpp v96, v104, v96 row_shr:8 row_mask:0xf bank_mask:0xf bound_ctrl:1// 0000000029E4: 28C0C0FA FF091868
	v_or_b32_dpp v97, v105, v97 row_shr:8 row_mask:0xf bank_mask:0xf bound_ctrl:1// 0000000029EC: 28C2C2FA FF091869
	v_or_b32_dpp v98, v106, v98 row_shr:8 row_mask:0xf bank_mask:0xf bound_ctrl:1// 0000000029F4: 28C4C4FA FF09186A
	v_or_b32_dpp v99, v107, v99 row_shr:8 row_mask:0xf bank_mask:0xf bound_ctrl:1// 0000000029FC: 28C6C6FA FF09186B
	v_or_b32_dpp v100, v108, v100 row_shr:8 row_mask:0xf bank_mask:0xf bound_ctrl:1// 000000002A04: 28C8C8FA FF09186C
	v_or_b32_dpp v101, v109, v101 row_shr:8 row_mask:0xf bank_mask:0xf bound_ctrl:1// 000000002A0C: 28CACAFA FF09186D
	v_or_b32_dpp v102, v110, v102 row_shr:8 row_mask:0xf bank_mask:0xf bound_ctrl:1// 000000002A14: 28CCCCFA FF09186E
	v_or_b32_dpp v103, v111, v103 row_shr:8 row_mask:0xf bank_mask:0xf bound_ctrl:1// 000000002A1C: 28CECEFA FF09186F
	buffer_load_dwordx4 a[100:103], v28, s[16:19], 0 offen offset:1024// 000000002A24: E05C1400 8084641C
	v_mov_b32_e32 v48, v96                                     // 000000002A2C: 7E600360
	v_max3_f32 v48, v96, v97, v48                              // 000000002A30: D1D30030 04C2C360
	v_max3_f32 v48, v98, v99, v48                              // 000000002A38: D1D30030 04C2C762
	v_max3_f32 v48, v100, v101, v48                            // 000000002A40: D1D30030 04C2CB64
	v_max3_f32 v48, v102, v103, v48                            // 000000002A48: D1D30030 04C2CF66
	ds_write_b32 v11, v48 offset:4224                          // 000000002A50: D81A1080 0000300B
	buffer_load_dwordx4 a[104:107], v28, s[16:19], 0 offen offset:2048// 000000002A58: E05C1800 8084681C
	s_waitcnt lgkmcnt(0)                                       // 000000002A60: BF8CC07F
	s_barrier                                                  // 000000002A64: BF8A0000
	ds_read_b32 v64, v10 offset:4224                           // 000000002A68: D86C1080 4000000A
	buffer_load_dwordx4 a[108:111], v28, s[16:19], 0 offen offset:3072// 000000002A70: E05C1C00 80846C1C
	ds_read_b32 v65, v10 offset:4288                           // 000000002A78: D86C10C0 4100000A
	ds_read_b32 v66, v10 offset:4352                           // 000000002A80: D86C1100 4200000A
	ds_read_b32 v67, v10 offset:4416                           // 000000002A88: D86C1140 4300000A
	ds_read_b32 v68, v10 offset:4480                           // 000000002A90: D86C1180 4400000A
	ds_read_b32 v69, v10 offset:4544                           // 000000002A98: D86C11C0 4500000A
	ds_read_b32 v70, v10 offset:4608                           // 000000002AA0: D86C1200 4600000A
	ds_read_b32 v71, v10 offset:4672                           // 000000002AA8: D86C1240 4700000A
	ds_read_b32 v72, v10 offset:4736                           // 000000002AB0: D86C1280 4800000A
	buffer_load_dwordx4 a[112:115], v29, s[16:19], 0 offen     // 000000002AB8: E05C1000 8084701D
	ds_read_b32 v73, v10 offset:4800                           // 000000002AC0: D86C12C0 4900000A
	ds_read_b32 v74, v10 offset:4864                           // 000000002AC8: D86C1300 4A00000A
	ds_read_b32 v75, v10 offset:4928                           // 000000002AD0: D86C1340 4B00000A
	ds_read_b32 v76, v10 offset:4992                           // 000000002AD8: D86C1380 4C00000A
	ds_read_b32 v77, v10 offset:5056                           // 000000002AE0: D86C13C0 4D00000A
	ds_read_b32 v78, v10 offset:5120                           // 000000002AE8: D86C1400 4E00000A
	ds_read_b32 v79, v10 offset:5184                           // 000000002AF0: D86C1440 4F00000A
	buffer_load_dwordx4 a[116:119], v29, s[16:19], 0 offen offset:1024// 000000002AF8: E05C1400 8084741D
	buffer_load_dwordx4 a[120:123], v29, s[16:19], 0 offen offset:2048// 000000002B00: E05C1800 8084781D
	s_waitcnt lgkmcnt(0)                                       // 000000002B08: BF8CC07F
	v_max3_f32 v48, v64, v65, v48                              // 000000002B0C: D1D30030 04C28340
	v_max3_f32 v48, v66, v67, v48                              // 000000002B14: D1D30030 04C28742
	v_max3_f32 v48, v68, v69, v48                              // 000000002B1C: D1D30030 04C28B44
	v_max3_f32 v48, v70, v71, v48                              // 000000002B24: D1D30030 04C28F46
	v_max3_f32 v48, v72, v73, v48                              // 000000002B2C: D1D30030 04C29348
	v_max3_f32 v48, v74, v75, v48                              // 000000002B34: D1D30030 04C2974A
	v_max3_f32 v48, v76, v77, v48                              // 000000002B3C: D1D30030 04C29B4C
	v_max3_f32 v48, v78, v79, v48                              // 000000002B44: D1D30030 04C29F4E
	buffer_load_dwordx4 a[124:127], v29, s[16:19], 0 offen offset:3072// 000000002B4C: E05C1C00 80847C1D
	v_cmp_eq_u32_e64 s[40:41], v52, v14                        // 000000002B54: D0CA0028 00021D34
	s_nop 1                                                    // 000000002B5C: BF800001
	v_mov_b32_dpp v38, v48 row_ror:8 row_mask:0xf bank_mask:0xf// 000000002B60: 7E4C02FA FF012830
	v_max_f32_e32 v48, v48, v38                                // 000000002B68: 16604D30
	v_max_f32_e32 v15, v48, v14                                // 000000002B6C: 161E1D30
	v_sub_f32_e32 v49, v14, v15                                // 000000002B70: 04621F0E
	v_cndmask_b32_e64 v49, v49, 0, s[40:41]                    // 000000002B74: D1000031 00A10131
	v_mov_b32_e32 v14, v15                                     // 000000002B7C: 7E1C030F
	v_mul_f32_e32 v50, s64, v15                                // 000000002B80: 0A641E40
	v_mul_f32_e32 v49, s64, v49                                // 000000002B84: 0A626240
	v_exp_f32_e32 v49, v49                                     // 000000002B88: 7E624131
	buffer_load_dwordx4 a[192:195], v144, s[20:23], 0 offen    // 000000002B8C: E05C1000 8085C090
	v_fma_f32 v96, v96, s64, -v50                              // 000000002B94: D1CB0060 84C88160
	v_fma_f32 v97, v97, s64, -v50                              // 000000002B9C: D1CB0061 84C88161
	v_fma_f32 v98, v98, s64, -v50                              // 000000002BA4: D1CB0062 84C88162
	v_fma_f32 v99, v99, s64, -v50                              // 000000002BAC: D1CB0063 84C88163
	v_fma_f32 v100, v100, s64, -v50                            // 000000002BB4: D1CB0064 84C88164
	v_fma_f32 v101, v101, s64, -v50                            // 000000002BBC: D1CB0065 84C88165
	v_fma_f32 v102, v102, s64, -v50                            // 000000002BC4: D1CB0066 84C88166
	v_fma_f32 v103, v103, s64, -v50                            // 000000002BCC: D1CB0067 84C88167
	v_exp_f32_e32 v96, v96                                     // 000000002BD4: 7EC04160
	v_exp_f32_e32 v97, v97                                     // 000000002BD8: 7EC24161
	v_exp_f32_e32 v98, v98                                     // 000000002BDC: 7EC44162
	v_exp_f32_e32 v99, v99                                     // 000000002BE0: 7EC64163
	v_exp_f32_e32 v100, v100                                   // 000000002BE4: 7EC84164
	v_exp_f32_e32 v101, v101                                   // 000000002BE8: 7ECA4165
	v_exp_f32_e32 v102, v102                                   // 000000002BEC: 7ECC4166
	v_exp_f32_e32 v103, v103                                   // 000000002BF0: 7ECE4167
	buffer_load_dwordx4 a[196:199], v145, s[20:23], 0 offen    // 000000002BF4: E05C1000 8085C491
	v_mul_f32_e32 v42, v49, v42                                // 000000002BFC: 0A545531
	v_mov_b32_e32 v43, v96                                     // 000000002C00: 7E560360
	v_add_f32_e32 v43, v97, v43                                // 000000002C04: 02565761
	v_add_f32_e32 v43, v98, v43                                // 000000002C08: 02565762
	v_add_f32_e32 v43, v99, v43                                // 000000002C0C: 02565763
	v_add_f32_e32 v43, v100, v43                               // 000000002C10: 02565764
	v_add_f32_e32 v43, v101, v43                               // 000000002C14: 02565765
	v_add_f32_e32 v43, v102, v43                               // 000000002C18: 02565766
	v_add_f32_e32 v43, v103, v43                               // 000000002C1C: 02565767
	v_add_f32_e32 v42, v43, v42                                // 000000002C20: 0254552B
	buffer_load_dwordx4 a[200:203], v146, s[20:23], 0 offen    // 000000002C24: E05C1000 8085C892
	v_cmp_u_f32_e64 s[40:41], v96, v96                         // 000000002C2C: D0480028 0002C160
	v_add3_u32 v18, v96, v21, 1                                // 000000002C34: D1FF0012 02062B60
	v_cndmask_b32_e64 v38, v18, v20, s[40:41]                  // 000000002C3C: D1000026 00A22912
	v_cmp_u_f32_e64 s[40:41], v97, v97                         // 000000002C44: D0480028 0002C361
	v_add3_u32 v18, v97, v21, 1                                // 000000002C4C: D1FF0012 02062B61
	v_cndmask_b32_e64 v39, v18, v20, s[40:41]                  // 000000002C54: D1000027 00A22912
	v_perm_b32 v96, v39, v38, s52                              // 000000002C5C: D1ED0060 00D24D27
	v_cmp_u_f32_e64 s[40:41], v98, v98                         // 000000002C64: D0480028 0002C562
	v_add3_u32 v18, v98, v21, 1                                // 000000002C6C: D1FF0012 02062B62
	v_cndmask_b32_e64 v38, v18, v20, s[40:41]                  // 000000002C74: D1000026 00A22912
	v_cmp_u_f32_e64 s[40:41], v99, v99                         // 000000002C7C: D0480028 0002C763
	v_add3_u32 v18, v99, v21, 1                                // 000000002C84: D1FF0012 02062B63
	v_cndmask_b32_e64 v39, v18, v20, s[40:41]                  // 000000002C8C: D1000027 00A22912
	v_perm_b32 v97, v39, v38, s52                              // 000000002C94: D1ED0061 00D24D27
	v_cmp_u_f32_e64 s[40:41], v100, v100                       // 000000002C9C: D0480028 0002C964
	v_add3_u32 v18, v100, v21, 1                               // 000000002CA4: D1FF0012 02062B64
	v_cndmask_b32_e64 v38, v18, v20, s[40:41]                  // 000000002CAC: D1000026 00A22912
	v_cmp_u_f32_e64 s[40:41], v101, v101                       // 000000002CB4: D0480028 0002CB65
	v_add3_u32 v18, v101, v21, 1                               // 000000002CBC: D1FF0012 02062B65
	v_cndmask_b32_e64 v39, v18, v20, s[40:41]                  // 000000002CC4: D1000027 00A22912
	v_perm_b32 v98, v39, v38, s52                              // 000000002CCC: D1ED0062 00D24D27
	v_cmp_u_f32_e64 s[40:41], v102, v102                       // 000000002CD4: D0480028 0002CD66
	v_add3_u32 v18, v102, v21, 1                               // 000000002CDC: D1FF0012 02062B66
	v_cndmask_b32_e64 v38, v18, v20, s[40:41]                  // 000000002CE4: D1000026 00A22912
	v_cmp_u_f32_e64 s[40:41], v103, v103                       // 000000002CEC: D0480028 0002CF67
	v_add3_u32 v18, v103, v21, 1                               // 000000002CF4: D1FF0012 02062B67
	v_cndmask_b32_e64 v39, v18, v20, s[40:41]                  // 000000002CFC: D1000027 00A22912
	v_perm_b32 v99, v39, v38, s52                              // 000000002D04: D1ED0063 00D24D27
	buffer_load_dwordx4 a[204:207], v147, s[20:23], 0 offen    // 000000002D0C: E05C1000 8085CC93
	buffer_load_dwordx4 a[208:211], v148, s[20:23], 0 offen    // 000000002D14: E05C1000 8085D094
	ds_write_b64 v13, v[96:97] offset:5248                     // 000000002D1C: D89A1480 0000600D
	ds_write_b64 v13, v[98:99] offset:7296                     // 000000002D24: D89A1C80 0000620D
	buffer_load_dwordx4 a[212:215], v149, s[20:23], 0 offen    // 000000002D2C: E05C1000 8085D495
	s_waitcnt lgkmcnt(0)                                       // 000000002D34: BF8CC07F
	s_barrier                                                  // 000000002D38: BF8A0000
	ds_read_b64 v[96:97], v12 offset:5248                      // 000000002D3C: D8EC1480 6000000C
	ds_read_b64 v[98:99], v12 offset:5376                      // 000000002D44: D8EC1500 6200000C
	ds_read_b64 v[100:101], v12 offset:6272                    // 000000002D4C: D8EC1880 6400000C
	ds_read_b64 v[102:103], v12 offset:6400                    // 000000002D54: D8EC1900 6600000C
	ds_read_b64 v[104:105], v12 offset:7296                    // 000000002D5C: D8EC1C80 6800000C
	ds_read_b64 v[106:107], v12 offset:7424                    // 000000002D64: D8EC1D00 6A00000C
	ds_read_b64 v[108:109], v12 offset:8320                    // 000000002D6C: D8EC2080 6C00000C
	ds_read_b64 v[110:111], v12 offset:8448                    // 000000002D74: D8EC2100 6E00000C
	buffer_load_dwordx4 a[216:219], v150, s[20:23], 0 offen    // 000000002D7C: E05C1000 8085D896
	s_waitcnt lgkmcnt(0)                                       // 000000002D84: BF8CC07F
	v_mov_b32_dpp v112, v96 row_shl:8 row_mask:0xf bank_mask:0xf bound_ctrl:1// 000000002D88: 7EE002FA FF090860
	v_and_b32_e32 v96, v96, v9                                 // 000000002D90: 26C01360
	v_mov_b32_dpp v113, v97 row_shl:8 row_mask:0xf bank_mask:0xf bound_ctrl:1// 000000002D94: 7EE202FA FF090861
	v_and_b32_e32 v97, v97, v9                                 // 000000002D9C: 26C21361
	v_mov_b32_dpp v114, v98 row_shl:8 row_mask:0xf bank_mask:0xf bound_ctrl:1// 000000002DA0: 7EE402FA FF090862
	v_and_b32_e32 v98, v98, v9                                 // 000000002DA8: 26C41362
	v_mov_b32_dpp v115, v99 row_shl:8 row_mask:0xf bank_mask:0xf bound_ctrl:1// 000000002DAC: 7EE602FA FF090863
	v_and_b32_e32 v99, v99, v9                                 // 000000002DB4: 26C61363
	v_mov_b32_dpp v116, v100 row_shl:8 row_mask:0xf bank_mask:0xf bound_ctrl:1// 000000002DB8: 7EE802FA FF090864
	v_and_b32_e32 v100, v100, v9                               // 000000002DC0: 26C81364
	v_mov_b32_dpp v117, v101 row_shl:8 row_mask:0xf bank_mask:0xf bound_ctrl:1// 000000002DC4: 7EEA02FA FF090865
	v_and_b32_e32 v101, v101, v9                               // 000000002DCC: 26CA1365
	v_mov_b32_dpp v118, v102 row_shl:8 row_mask:0xf bank_mask:0xf bound_ctrl:1// 000000002DD0: 7EEC02FA FF090866
	v_and_b32_e32 v102, v102, v9                               // 000000002DD8: 26CC1366
	v_mov_b32_dpp v119, v103 row_shl:8 row_mask:0xf bank_mask:0xf bound_ctrl:1// 000000002DDC: 7EEE02FA FF090867
	v_and_b32_e32 v103, v103, v9                               // 000000002DE4: 26CE1367
	v_mov_b32_dpp v120, v104 row_shl:8 row_mask:0xf bank_mask:0xf bound_ctrl:1// 000000002DE8: 7EF002FA FF090868
	v_and_b32_e32 v104, v104, v9                               // 000000002DF0: 26D01368
	v_mov_b32_dpp v121, v105 row_shl:8 row_mask:0xf bank_mask:0xf bound_ctrl:1// 000000002DF4: 7EF202FA FF090869
	v_and_b32_e32 v105, v105, v9                               // 000000002DFC: 26D21369
	v_mov_b32_dpp v122, v106 row_shl:8 row_mask:0xf bank_mask:0xf bound_ctrl:1// 000000002E00: 7EF402FA FF09086A
	v_and_b32_e32 v106, v106, v9                               // 000000002E08: 26D4136A
	v_mov_b32_dpp v123, v107 row_shl:8 row_mask:0xf bank_mask:0xf bound_ctrl:1// 000000002E0C: 7EF602FA FF09086B
	v_and_b32_e32 v107, v107, v9                               // 000000002E14: 26D6136B
	v_mov_b32_dpp v124, v108 row_shl:8 row_mask:0xf bank_mask:0xf bound_ctrl:1// 000000002E18: 7EF802FA FF09086C
	v_and_b32_e32 v108, v108, v9                               // 000000002E20: 26D8136C
	v_mov_b32_dpp v125, v109 row_shl:8 row_mask:0xf bank_mask:0xf bound_ctrl:1// 000000002E24: 7EFA02FA FF09086D
	v_and_b32_e32 v109, v109, v9                               // 000000002E2C: 26DA136D
	v_mov_b32_dpp v126, v110 row_shl:8 row_mask:0xf bank_mask:0xf bound_ctrl:1// 000000002E30: 7EFC02FA FF09086E
	v_and_b32_e32 v110, v110, v9                               // 000000002E38: 26DC136E
	v_mov_b32_dpp v127, v111 row_shl:8 row_mask:0xf bank_mask:0xf bound_ctrl:1// 000000002E3C: 7EFE02FA FF09086F
	v_and_b32_e32 v111, v111, v9                               // 000000002E44: 26DE136F
	buffer_load_dwordx4 a[220:223], v151, s[20:23], 0 offen    // 000000002E48: E05C1000 8085DC97
	v_mul_f32_e32 v128, v49, v128                              // 000000002E50: 0B010131
	v_mul_f32_e32 v129, v49, v129                              // 000000002E54: 0B030331
	v_mul_f32_e32 v130, v49, v130                              // 000000002E58: 0B050531
	v_mul_f32_e32 v131, v49, v131                              // 000000002E5C: 0B070731
	v_mul_f32_e32 v132, v49, v132                              // 000000002E60: 0B090931
	v_mul_f32_e32 v133, v49, v133                              // 000000002E64: 0B0B0B31
	v_mul_f32_e32 v134, v49, v134                              // 000000002E68: 0B0D0D31
	v_mul_f32_e32 v135, v49, v135                              // 000000002E6C: 0B0F0F31
	s_waitcnt vmcnt(24)                                        // 000000002E70: BF8C4F78
	v_mfma_f32_16x16x16_bf16 v[128:131], a[128:129], v[96:97], v[128:131]// 000000002E74: D3E10080 0E02C180
	v_mfma_f32_16x16x16_bf16 v[128:131], a[130:131], v[98:99], v[128:131]// 000000002E7C: D3E10080 0E02C582
	buffer_load_dwordx4 a[224:227], v144, s[20:23], 0 offen offset:1024// 000000002E84: E05C1400 8085E090
	v_mfma_f32_16x16x16_bf16 v[128:131], a[132:133], v[100:101], v[128:131]// 000000002E8C: D3E10080 0E02C984
	v_mfma_f32_16x16x16_bf16 v[128:131], a[134:135], v[102:103], v[128:131]// 000000002E94: D3E10080 0E02CD86
	v_mfma_f32_16x16x16_bf16 v[128:131], a[136:137], v[104:105], v[128:131]// 000000002E9C: D3E10080 0E02D188
	v_mfma_f32_16x16x16_bf16 v[128:131], a[138:139], v[106:107], v[128:131]// 000000002EA4: D3E10080 0E02D58A
	buffer_load_dwordx4 a[228:231], v145, s[20:23], 0 offen offset:1024// 000000002EAC: E05C1400 8085E491
	v_mfma_f32_16x16x16_bf16 v[128:131], a[140:141], v[108:109], v[128:131]// 000000002EB4: D3E10080 0E02D98C
	v_mfma_f32_16x16x16_bf16 v[128:131], a[142:143], v[110:111], v[128:131]// 000000002EBC: D3E10080 0E02DD8E
	v_mfma_f32_16x16x16_bf16 v[128:131], a[144:145], v[112:113], v[128:131]// 000000002EC4: D3E10080 0E02E190
	v_mfma_f32_16x16x16_bf16 v[128:131], a[146:147], v[114:115], v[128:131]// 000000002ECC: D3E10080 0E02E592
	buffer_load_dwordx4 a[232:235], v146, s[20:23], 0 offen offset:1024// 000000002ED4: E05C1400 8085E892
	v_mfma_f32_16x16x16_bf16 v[128:131], a[148:149], v[116:117], v[128:131]// 000000002EDC: D3E10080 0E02E994
	v_mfma_f32_16x16x16_bf16 v[128:131], a[150:151], v[118:119], v[128:131]// 000000002EE4: D3E10080 0E02ED96
	v_mfma_f32_16x16x16_bf16 v[128:131], a[152:153], v[120:121], v[128:131]// 000000002EEC: D3E10080 0E02F198
	v_mfma_f32_16x16x16_bf16 v[128:131], a[154:155], v[122:123], v[128:131]// 000000002EF4: D3E10080 0E02F59A
	buffer_load_dwordx4 a[236:239], v147, s[20:23], 0 offen offset:1024// 000000002EFC: E05C1400 8085EC93
	v_mfma_f32_16x16x16_bf16 v[128:131], a[156:157], v[124:125], v[128:131]// 000000002F04: D3E10080 0E02F99C
	v_mfma_f32_16x16x16_bf16 v[128:131], a[158:159], v[126:127], v[128:131]// 000000002F0C: D3E10080 0E02FD9E
	v_mfma_f32_16x16x16_bf16 v[132:135], a[160:161], v[96:97], v[132:135]// 000000002F14: D3E10084 0E12C1A0
	v_mfma_f32_16x16x16_bf16 v[132:135], a[162:163], v[98:99], v[132:135]// 000000002F1C: D3E10084 0E12C5A2
	buffer_load_dwordx4 a[240:243], v148, s[20:23], 0 offen offset:1024// 000000002F24: E05C1400 8085F094
	v_mfma_f32_16x16x16_bf16 v[132:135], a[164:165], v[100:101], v[132:135]// 000000002F2C: D3E10084 0E12C9A4
	v_mfma_f32_16x16x16_bf16 v[132:135], a[166:167], v[102:103], v[132:135]// 000000002F34: D3E10084 0E12CDA6
	v_mfma_f32_16x16x16_bf16 v[132:135], a[168:169], v[104:105], v[132:135]// 000000002F3C: D3E10084 0E12D1A8
	v_mfma_f32_16x16x16_bf16 v[132:135], a[170:171], v[106:107], v[132:135]// 000000002F44: D3E10084 0E12D5AA
	buffer_load_dwordx4 a[244:247], v149, s[20:23], 0 offen offset:1024// 000000002F4C: E05C1400 8085F495
	v_mfma_f32_16x16x16_bf16 v[132:135], a[172:173], v[108:109], v[132:135]// 000000002F54: D3E10084 0E12D9AC
	v_mfma_f32_16x16x16_bf16 v[132:135], a[174:175], v[110:111], v[132:135]// 000000002F5C: D3E10084 0E12DDAE
	v_mfma_f32_16x16x16_bf16 v[132:135], a[176:177], v[112:113], v[132:135]// 000000002F64: D3E10084 0E12E1B0
	v_mfma_f32_16x16x16_bf16 v[132:135], a[178:179], v[114:115], v[132:135]// 000000002F6C: D3E10084 0E12E5B2
	buffer_load_dwordx4 a[248:251], v150, s[20:23], 0 offen offset:1024// 000000002F74: E05C1400 8085F896
	v_mfma_f32_16x16x16_bf16 v[132:135], a[180:181], v[116:117], v[132:135]// 000000002F7C: D3E10084 0E12E9B4
	v_mfma_f32_16x16x16_bf16 v[132:135], a[182:183], v[118:119], v[132:135]// 000000002F84: D3E10084 0E12EDB6
	v_mfma_f32_16x16x16_bf16 v[132:135], a[184:185], v[120:121], v[132:135]// 000000002F8C: D3E10084 0E12F1B8
	v_mfma_f32_16x16x16_bf16 v[132:135], a[186:187], v[122:123], v[132:135]// 000000002F94: D3E10084 0E12F5BA
	buffer_load_dwordx4 a[252:255], v151, s[20:23], 0 offen offset:1024// 000000002F9C: E05C1400 8085FC97
	v_mfma_f32_16x16x16_bf16 v[132:135], a[188:189], v[124:125], v[132:135]// 000000002FA4: D3E10084 0E12F9BC
	v_mfma_f32_16x16x16_bf16 v[132:135], a[190:191], v[126:127], v[132:135]// 000000002FAC: D3E10084 0E12FDBE
	s_lshr_b32 s60, s70, 4                                     // 000000002FB4: 8F3C8446
	s_add_u32 s60, 48, s60                                     // 000000002FB8: 803C3CB0
	s_cmp_ge_u32 s60, s73                                      // 000000002FBC: BF09493C
	s_cselect_b32 s56, 0, s56                                  // 000000002FC0: 85383880
	v_mul_u32_u24_dpp v38, v16, v51 row_newbcast:0 row_mask:0xf bank_mask:0xf// 000000002FC4: 104C66FA FF015010
	v_mul_u32_u24_dpp v39, v16, v51 row_newbcast:4 row_mask:0xf bank_mask:0xf// 000000002FCC: 104E66FA FF015410
	v_mul_u32_u24_dpp v40, v16, v51 row_newbcast:8 row_mask:0xf bank_mask:0xf// 000000002FD4: 105066FA FF015810
	v_mul_u32_u24_dpp v41, v16, v51 row_newbcast:12 row_mask:0xf bank_mask:0xf// 000000002FDC: 105266FA FF015C10
	v_add_u32_e32 v22, v38, v6                                 // 000000002FE4: 682C0D26
	v_add_u32_e32 v23, v39, v6                                 // 000000002FE8: 682E0D27
	v_add_u32_e32 v24, v40, v6                                 // 000000002FEC: 68300D28
	v_add_u32_e32 v25, v41, v6                                 // 000000002FF0: 68320D29
	v_mul_u32_u24_dpp v38, v16, v51 row_newbcast:1 row_mask:0xf bank_mask:0xf// 000000002FF4: 104C66FA FF015110
	v_mul_u32_u24_dpp v39, v16, v51 row_newbcast:2 row_mask:0xf bank_mask:0xf// 000000002FFC: 104E66FA FF015210
	v_mul_u32_u24_dpp v40, v16, v51 row_newbcast:5 row_mask:0xf bank_mask:0xf// 000000003004: 105066FA FF015510
	v_mul_u32_u24_dpp v41, v16, v51 row_newbcast:6 row_mask:0xf bank_mask:0xf// 00000000300C: 105266FA FF015610
	v_add_u32_e32 v136, v38, v7                                // 000000003014: 69100F26
	v_add_u32_e32 v137, v39, v7                                // 000000003018: 69120F27
	v_add_u32_e32 v138, v40, v7                                // 00000000301C: 69140F28
	v_add_u32_e32 v139, v41, v7                                // 000000003020: 69160F29
	v_mul_u32_u24_dpp v38, v16, v51 row_newbcast:9 row_mask:0xf bank_mask:0xf// 000000003024: 104C66FA FF015910
	v_mul_u32_u24_dpp v39, v16, v51 row_newbcast:10 row_mask:0xf bank_mask:0xf// 00000000302C: 104E66FA FF015A10
	v_mul_u32_u24_dpp v40, v16, v51 row_newbcast:13 row_mask:0xf bank_mask:0xf// 000000003034: 105066FA FF015D10
	v_mul_u32_u24_dpp v41, v16, v51 row_newbcast:7 row_mask:0xf bank_mask:0xf// 00000000303C: 105266FA FF015710
	v_add_u32_e32 v140, v38, v7                                // 000000003044: 69180F26
	v_add_u32_e32 v141, v39, v7                                // 000000003048: 691A0F27
	v_add_u32_e32 v142, v40, v7                                // 00000000304C: 691C0F28
	v_add_u32_e32 v143, v41, v7                                // 000000003050: 691E0F29
	v_add_u32_e32 v1, s56, v1                                  // 000000003054: 68020238
	s_addk_i32 s70, 0x100                                      // 000000003058: B7460100
	s_cmp_lt_i32 s70, s71                                      // 00000000305C: BF044746
	s_cbranch_scc0 label_0590                                  // 000000003060: BF8401F7
	s_waitcnt vmcnt(16) lgkmcnt(0)                             // 000000003064: BF8C4070
	v_mfma_f32_16x16x16_bf16 v[96:99], a[64:65], v[80:81], 0   // 000000003068: D3E10060 0A02A140
	v_mfma_f32_16x16x16_bf16 v[96:99], a[66:67], v[82:83], v[96:99]// 000000003070: D3E10060 0D82A542
	buffer_load_dwordx4 a[0:3], v22, s[16:19], 0 offen         // 000000003078: E05C1000 80840016
	v_mfma_f32_16x16x16_bf16 v[96:99], a[68:69], v[84:85], v[96:99]// 000000003080: D3E10060 0D82A944
	v_mfma_f32_16x16x16_bf16 v[96:99], a[70:71], v[86:87], v[96:99]// 000000003088: D3E10060 0D82AD46
	buffer_load_dword v17, v1, s[24:27], 0 offen               // 000000003090: E0501000 80061101
	v_mfma_f32_16x16x16_bf16 v[96:99], a[72:73], v[88:89], v[96:99]// 000000003098: D3E10060 0D82B148
	v_mfma_f32_16x16x16_bf16 v[96:99], a[74:75], v[90:91], v[96:99]// 0000000030A0: D3E10060 0D82B54A
	buffer_load_dwordx4 a[4:7], v22, s[16:19], 0 offen offset:1024// 0000000030A8: E05C1400 80840416
	v_mfma_f32_16x16x16_bf16 v[96:99], a[76:77], v[92:93], v[96:99]// 0000000030B0: D3E10060 0D82B94C
	v_mfma_f32_16x16x16_bf16 v[96:99], a[78:79], v[94:95], v[96:99]// 0000000030B8: D3E10060 0D82BD4E
	v_mfma_f32_16x16x16_bf16 v[100:103], a[80:81], v[80:81], 0 // 0000000030C0: D3E10064 0A02A150
	v_mfma_f32_16x16x16_bf16 v[100:103], a[82:83], v[82:83], v[100:103]// 0000000030C8: D3E10064 0D92A552
	buffer_load_dwordx4 a[8:11], v22, s[16:19], 0 offen offset:2048// 0000000030D0: E05C1800 80840816
	v_mfma_f32_16x16x16_bf16 v[100:103], a[84:85], v[84:85], v[100:103]// 0000000030D8: D3E10064 0D92A954
	v_mfma_f32_16x16x16_bf16 v[100:103], a[86:87], v[86:87], v[100:103]// 0000000030E0: D3E10064 0D92AD56
	v_mfma_f32_16x16x16_bf16 v[100:103], a[88:89], v[88:89], v[100:103]// 0000000030E8: D3E10064 0D92B158
	v_mfma_f32_16x16x16_bf16 v[100:103], a[90:91], v[90:91], v[100:103]// 0000000030F0: D3E10064 0D92B55A
	buffer_load_dwordx4 a[12:15], v22, s[16:19], 0 offen offset:3072// 0000000030F8: E05C1C00 80840C16
	v_mfma_f32_16x16x16_bf16 v[100:103], a[92:93], v[92:93], v[100:103]// 000000003100: D3E10064 0D92B95C
	v_mfma_f32_16x16x16_bf16 v[100:103], a[94:95], v[94:95], v[100:103]// 000000003108: D3E10064 0D92BD5E
	v_mfma_f32_16x16x16_bf16 v[104:107], a[96:97], v[80:81], 0 // 000000003110: D3E10068 0A02A160
	v_mfma_f32_16x16x16_bf16 v[104:107], a[98:99], v[82:83], v[104:107]// 000000003118: D3E10068 0DA2A562
	buffer_load_dwordx4 a[16:19], v23, s[16:19], 0 offen       // 000000003120: E05C1000 80841017
	v_mfma_f32_16x16x16_bf16 v[104:107], a[100:101], v[84:85], v[104:107]// 000000003128: D3E10068 0DA2A964
	v_mfma_f32_16x16x16_bf16 v[104:107], a[102:103], v[86:87], v[104:107]// 000000003130: D3E10068 0DA2AD66
	v_mfma_f32_16x16x16_bf16 v[104:107], a[104:105], v[88:89], v[104:107]// 000000003138: D3E10068 0DA2B168
	v_mfma_f32_16x16x16_bf16 v[104:107], a[106:107], v[90:91], v[104:107]// 000000003140: D3E10068 0DA2B56A
	buffer_load_dwordx4 a[20:23], v23, s[16:19], 0 offen offset:1024// 000000003148: E05C1400 80841417
	v_mfma_f32_16x16x16_bf16 v[104:107], a[108:109], v[92:93], v[104:107]// 000000003150: D3E10068 0DA2B96C
	v_mfma_f32_16x16x16_bf16 v[104:107], a[110:111], v[94:95], v[104:107]// 000000003158: D3E10068 0DA2BD6E
	v_mfma_f32_16x16x16_bf16 v[108:111], a[112:113], v[80:81], 0// 000000003160: D3E1006C 0A02A170
	v_mfma_f32_16x16x16_bf16 v[108:111], a[114:115], v[82:83], v[108:111]// 000000003168: D3E1006C 0DB2A572
	buffer_load_dwordx4 a[24:27], v23, s[16:19], 0 offen offset:2048// 000000003170: E05C1800 80841817
	v_mfma_f32_16x16x16_bf16 v[108:111], a[116:117], v[84:85], v[108:111]// 000000003178: D3E1006C 0DB2A974
	v_mfma_f32_16x16x16_bf16 v[108:111], a[118:119], v[86:87], v[108:111]// 000000003180: D3E1006C 0DB2AD76
	v_mfma_f32_16x16x16_bf16 v[108:111], a[120:121], v[88:89], v[108:111]// 000000003188: D3E1006C 0DB2B178
	v_mfma_f32_16x16x16_bf16 v[108:111], a[122:123], v[90:91], v[108:111]// 000000003190: D3E1006C 0DB2B57A
	buffer_load_dwordx4 a[28:31], v23, s[16:19], 0 offen offset:3072// 000000003198: E05C1C00 80841C17
	v_mfma_f32_16x16x16_bf16 v[108:111], a[124:125], v[92:93], v[108:111]// 0000000031A0: D3E1006C 0DB2B97C
	v_mfma_f32_16x16x16_bf16 v[108:111], a[126:127], v[94:95], v[108:111]// 0000000031A8: D3E1006C 0DB2BD7E
	buffer_load_dwordx4 a[32:35], v24, s[16:19], 0 offen       // 0000000031B0: E05C1000 80842018
	s_nop 8                                                    // 0000000031B8: BF800008
	v_or_b32_dpp v96, v104, v96 row_shr:8 row_mask:0xf bank_mask:0xf bound_ctrl:1// 0000000031BC: 28C0C0FA FF091868
	v_or_b32_dpp v97, v105, v97 row_shr:8 row_mask:0xf bank_mask:0xf bound_ctrl:1// 0000000031C4: 28C2C2FA FF091869
	v_or_b32_dpp v98, v106, v98 row_shr:8 row_mask:0xf bank_mask:0xf bound_ctrl:1// 0000000031CC: 28C4C4FA FF09186A
	v_or_b32_dpp v99, v107, v99 row_shr:8 row_mask:0xf bank_mask:0xf bound_ctrl:1// 0000000031D4: 28C6C6FA FF09186B
	v_or_b32_dpp v100, v108, v100 row_shr:8 row_mask:0xf bank_mask:0xf bound_ctrl:1// 0000000031DC: 28C8C8FA FF09186C
	v_or_b32_dpp v101, v109, v101 row_shr:8 row_mask:0xf bank_mask:0xf bound_ctrl:1// 0000000031E4: 28CACAFA FF09186D
	v_or_b32_dpp v102, v110, v102 row_shr:8 row_mask:0xf bank_mask:0xf bound_ctrl:1// 0000000031EC: 28CCCCFA FF09186E
	v_or_b32_dpp v103, v111, v103 row_shr:8 row_mask:0xf bank_mask:0xf bound_ctrl:1// 0000000031F4: 28CECEFA FF09186F
	buffer_load_dwordx4 a[36:39], v24, s[16:19], 0 offen offset:1024// 0000000031FC: E05C1400 80842418
	v_mov_b32_e32 v48, v96                                     // 000000003204: 7E600360
	v_max3_f32 v48, v96, v97, v48                              // 000000003208: D1D30030 04C2C360
	v_max3_f32 v48, v98, v99, v48                              // 000000003210: D1D30030 04C2C762
	v_max3_f32 v48, v100, v101, v48                            // 000000003218: D1D30030 04C2CB64
	v_max3_f32 v48, v102, v103, v48                            // 000000003220: D1D30030 04C2CF66
	ds_write_b32 v11, v48 offset:4224                          // 000000003228: D81A1080 0000300B
	buffer_load_dwordx4 a[40:43], v24, s[16:19], 0 offen offset:2048// 000000003230: E05C1800 80842818
	s_waitcnt lgkmcnt(0)                                       // 000000003238: BF8CC07F
	s_barrier                                                  // 00000000323C: BF8A0000
	ds_read_b32 v64, v10 offset:4224                           // 000000003240: D86C1080 4000000A
	buffer_load_dwordx4 a[44:47], v24, s[16:19], 0 offen offset:3072// 000000003248: E05C1C00 80842C18
	ds_read_b32 v65, v10 offset:4288                           // 000000003250: D86C10C0 4100000A
	ds_read_b32 v66, v10 offset:4352                           // 000000003258: D86C1100 4200000A
	ds_read_b32 v67, v10 offset:4416                           // 000000003260: D86C1140 4300000A
	ds_read_b32 v68, v10 offset:4480                           // 000000003268: D86C1180 4400000A
	ds_read_b32 v69, v10 offset:4544                           // 000000003270: D86C11C0 4500000A
	ds_read_b32 v70, v10 offset:4608                           // 000000003278: D86C1200 4600000A
	ds_read_b32 v71, v10 offset:4672                           // 000000003280: D86C1240 4700000A
	ds_read_b32 v72, v10 offset:4736                           // 000000003288: D86C1280 4800000A
	buffer_load_dwordx4 a[48:51], v25, s[16:19], 0 offen       // 000000003290: E05C1000 80843019
	ds_read_b32 v73, v10 offset:4800                           // 000000003298: D86C12C0 4900000A
	ds_read_b32 v74, v10 offset:4864                           // 0000000032A0: D86C1300 4A00000A
	ds_read_b32 v75, v10 offset:4928                           // 0000000032A8: D86C1340 4B00000A
	ds_read_b32 v76, v10 offset:4992                           // 0000000032B0: D86C1380 4C00000A
	ds_read_b32 v77, v10 offset:5056                           // 0000000032B8: D86C13C0 4D00000A
	ds_read_b32 v78, v10 offset:5120                           // 0000000032C0: D86C1400 4E00000A
	ds_read_b32 v79, v10 offset:5184                           // 0000000032C8: D86C1440 4F00000A
	buffer_load_dwordx4 a[52:55], v25, s[16:19], 0 offen offset:1024// 0000000032D0: E05C1400 80843419
	buffer_load_dwordx4 a[56:59], v25, s[16:19], 0 offen offset:2048// 0000000032D8: E05C1800 80843819
	s_waitcnt lgkmcnt(0)                                       // 0000000032E0: BF8CC07F
	v_max3_f32 v48, v64, v65, v48                              // 0000000032E4: D1D30030 04C28340
	v_max3_f32 v48, v66, v67, v48                              // 0000000032EC: D1D30030 04C28742
	v_max3_f32 v48, v68, v69, v48                              // 0000000032F4: D1D30030 04C28B44
	v_max3_f32 v48, v70, v71, v48                              // 0000000032FC: D1D30030 04C28F46
	v_max3_f32 v48, v72, v73, v48                              // 000000003304: D1D30030 04C29348
	v_max3_f32 v48, v74, v75, v48                              // 00000000330C: D1D30030 04C2974A
	v_max3_f32 v48, v76, v77, v48                              // 000000003314: D1D30030 04C29B4C
	v_max3_f32 v48, v78, v79, v48                              // 00000000331C: D1D30030 04C29F4E
	buffer_load_dwordx4 a[60:63], v25, s[16:19], 0 offen offset:3072// 000000003324: E05C1C00 80843C19
	v_cmp_eq_u32_e64 s[40:41], v52, v14                        // 00000000332C: D0CA0028 00021D34
	s_nop 1                                                    // 000000003334: BF800001
	v_mov_b32_dpp v38, v48 row_ror:8 row_mask:0xf bank_mask:0xf// 000000003338: 7E4C02FA FF012830
	v_max_f32_e32 v48, v48, v38                                // 000000003340: 16604D30
	v_max_f32_e32 v15, v48, v14                                // 000000003344: 161E1D30
	v_sub_f32_e32 v49, v14, v15                                // 000000003348: 04621F0E
	v_cndmask_b32_e64 v49, v49, 0, s[40:41]                    // 00000000334C: D1000031 00A10131
	v_mov_b32_e32 v14, v15                                     // 000000003354: 7E1C030F
	v_mul_f32_e32 v50, s64, v15                                // 000000003358: 0A641E40
	v_mul_f32_e32 v49, s64, v49                                // 00000000335C: 0A626240
	v_exp_f32_e32 v49, v49                                     // 000000003360: 7E624131
	buffer_load_dwordx4 a[128:131], v136, s[20:23], 0 offen    // 000000003364: E05C1000 80858088
	v_fma_f32 v96, v96, s64, -v50                              // 00000000336C: D1CB0060 84C88160
	v_fma_f32 v97, v97, s64, -v50                              // 000000003374: D1CB0061 84C88161
	v_fma_f32 v98, v98, s64, -v50                              // 00000000337C: D1CB0062 84C88162
	v_fma_f32 v99, v99, s64, -v50                              // 000000003384: D1CB0063 84C88163
	v_fma_f32 v100, v100, s64, -v50                            // 00000000338C: D1CB0064 84C88164
	v_fma_f32 v101, v101, s64, -v50                            // 000000003394: D1CB0065 84C88165
	v_fma_f32 v102, v102, s64, -v50                            // 00000000339C: D1CB0066 84C88166
	v_fma_f32 v103, v103, s64, -v50                            // 0000000033A4: D1CB0067 84C88167
	v_exp_f32_e32 v96, v96                                     // 0000000033AC: 7EC04160
	v_exp_f32_e32 v97, v97                                     // 0000000033B0: 7EC24161
	v_exp_f32_e32 v98, v98                                     // 0000000033B4: 7EC44162
	v_exp_f32_e32 v99, v99                                     // 0000000033B8: 7EC64163
	v_exp_f32_e32 v100, v100                                   // 0000000033BC: 7EC84164
	v_exp_f32_e32 v101, v101                                   // 0000000033C0: 7ECA4165
	v_exp_f32_e32 v102, v102                                   // 0000000033C4: 7ECC4166
	v_exp_f32_e32 v103, v103                                   // 0000000033C8: 7ECE4167
	buffer_load_dwordx4 a[132:135], v137, s[20:23], 0 offen    // 0000000033CC: E05C1000 80858489
	v_mul_f32_e32 v42, v49, v42                                // 0000000033D4: 0A545531
	v_mov_b32_e32 v43, v96                                     // 0000000033D8: 7E560360
	v_add_f32_e32 v43, v97, v43                                // 0000000033DC: 02565761
	v_add_f32_e32 v43, v98, v43                                // 0000000033E0: 02565762
	v_add_f32_e32 v43, v99, v43                                // 0000000033E4: 02565763
	v_add_f32_e32 v43, v100, v43                               // 0000000033E8: 02565764
	v_add_f32_e32 v43, v101, v43                               // 0000000033EC: 02565765
	v_add_f32_e32 v43, v102, v43                               // 0000000033F0: 02565766
	v_add_f32_e32 v43, v103, v43                               // 0000000033F4: 02565767
	v_add_f32_e32 v42, v43, v42                                // 0000000033F8: 0254552B
	buffer_load_dwordx4 a[136:139], v138, s[20:23], 0 offen    // 0000000033FC: E05C1000 8085888A
	v_cmp_u_f32_e64 s[40:41], v96, v96                         // 000000003404: D0480028 0002C160
	v_add3_u32 v18, v96, v21, 1                                // 00000000340C: D1FF0012 02062B60
	v_cndmask_b32_e64 v38, v18, v20, s[40:41]                  // 000000003414: D1000026 00A22912
	v_cmp_u_f32_e64 s[40:41], v97, v97                         // 00000000341C: D0480028 0002C361
	v_add3_u32 v18, v97, v21, 1                                // 000000003424: D1FF0012 02062B61
	v_cndmask_b32_e64 v39, v18, v20, s[40:41]                  // 00000000342C: D1000027 00A22912
	v_perm_b32 v96, v39, v38, s52                              // 000000003434: D1ED0060 00D24D27
	v_cmp_u_f32_e64 s[40:41], v98, v98                         // 00000000343C: D0480028 0002C562
	v_add3_u32 v18, v98, v21, 1                                // 000000003444: D1FF0012 02062B62
	v_cndmask_b32_e64 v38, v18, v20, s[40:41]                  // 00000000344C: D1000026 00A22912
	v_cmp_u_f32_e64 s[40:41], v99, v99                         // 000000003454: D0480028 0002C763
	v_add3_u32 v18, v99, v21, 1                                // 00000000345C: D1FF0012 02062B63
	v_cndmask_b32_e64 v39, v18, v20, s[40:41]                  // 000000003464: D1000027 00A22912
	v_perm_b32 v97, v39, v38, s52                              // 00000000346C: D1ED0061 00D24D27
	v_cmp_u_f32_e64 s[40:41], v100, v100                       // 000000003474: D0480028 0002C964
	v_add3_u32 v18, v100, v21, 1                               // 00000000347C: D1FF0012 02062B64
	v_cndmask_b32_e64 v38, v18, v20, s[40:41]                  // 000000003484: D1000026 00A22912
	v_cmp_u_f32_e64 s[40:41], v101, v101                       // 00000000348C: D0480028 0002CB65
	v_add3_u32 v18, v101, v21, 1                               // 000000003494: D1FF0012 02062B65
	v_cndmask_b32_e64 v39, v18, v20, s[40:41]                  // 00000000349C: D1000027 00A22912
	v_perm_b32 v98, v39, v38, s52                              // 0000000034A4: D1ED0062 00D24D27
	v_cmp_u_f32_e64 s[40:41], v102, v102                       // 0000000034AC: D0480028 0002CD66
	v_add3_u32 v18, v102, v21, 1                               // 0000000034B4: D1FF0012 02062B66
	v_cndmask_b32_e64 v38, v18, v20, s[40:41]                  // 0000000034BC: D1000026 00A22912
	v_cmp_u_f32_e64 s[40:41], v103, v103                       // 0000000034C4: D0480028 0002CF67
	v_add3_u32 v18, v103, v21, 1                               // 0000000034CC: D1FF0012 02062B67
	v_cndmask_b32_e64 v39, v18, v20, s[40:41]                  // 0000000034D4: D1000027 00A22912
	v_perm_b32 v99, v39, v38, s52                              // 0000000034DC: D1ED0063 00D24D27
	buffer_load_dwordx4 a[140:143], v139, s[20:23], 0 offen    // 0000000034E4: E05C1000 80858C8B
	buffer_load_dwordx4 a[144:147], v140, s[20:23], 0 offen    // 0000000034EC: E05C1000 8085908C
	ds_write_b64 v13, v[96:97] offset:5248                     // 0000000034F4: D89A1480 0000600D
	ds_write_b64 v13, v[98:99] offset:7296                     // 0000000034FC: D89A1C80 0000620D
	buffer_load_dwordx4 a[148:151], v141, s[20:23], 0 offen    // 000000003504: E05C1000 8085948D
	s_waitcnt lgkmcnt(0)                                       // 00000000350C: BF8CC07F
	s_barrier                                                  // 000000003510: BF8A0000
	ds_read_b64 v[96:97], v12 offset:5248                      // 000000003514: D8EC1480 6000000C
	ds_read_b64 v[98:99], v12 offset:5376                      // 00000000351C: D8EC1500 6200000C
	ds_read_b64 v[100:101], v12 offset:6272                    // 000000003524: D8EC1880 6400000C
	ds_read_b64 v[102:103], v12 offset:6400                    // 00000000352C: D8EC1900 6600000C
	ds_read_b64 v[104:105], v12 offset:7296                    // 000000003534: D8EC1C80 6800000C
	ds_read_b64 v[106:107], v12 offset:7424                    // 00000000353C: D8EC1D00 6A00000C
	ds_read_b64 v[108:109], v12 offset:8320                    // 000000003544: D8EC2080 6C00000C
	ds_read_b64 v[110:111], v12 offset:8448                    // 00000000354C: D8EC2100 6E00000C
	buffer_load_dwordx4 a[152:155], v142, s[20:23], 0 offen    // 000000003554: E05C1000 8085988E
	s_waitcnt lgkmcnt(0)                                       // 00000000355C: BF8CC07F
	v_mov_b32_dpp v112, v96 row_shl:8 row_mask:0xf bank_mask:0xf bound_ctrl:1// 000000003560: 7EE002FA FF090860
	v_and_b32_e32 v96, v96, v9                                 // 000000003568: 26C01360
	v_mov_b32_dpp v113, v97 row_shl:8 row_mask:0xf bank_mask:0xf bound_ctrl:1// 00000000356C: 7EE202FA FF090861
	v_and_b32_e32 v97, v97, v9                                 // 000000003574: 26C21361
	v_mov_b32_dpp v114, v98 row_shl:8 row_mask:0xf bank_mask:0xf bound_ctrl:1// 000000003578: 7EE402FA FF090862
	v_and_b32_e32 v98, v98, v9                                 // 000000003580: 26C41362
	v_mov_b32_dpp v115, v99 row_shl:8 row_mask:0xf bank_mask:0xf bound_ctrl:1// 000000003584: 7EE602FA FF090863
	v_and_b32_e32 v99, v99, v9                                 // 00000000358C: 26C61363
	v_mov_b32_dpp v116, v100 row_shl:8 row_mask:0xf bank_mask:0xf bound_ctrl:1// 000000003590: 7EE802FA FF090864
	v_and_b32_e32 v100, v100, v9                               // 000000003598: 26C81364
	v_mov_b32_dpp v117, v101 row_shl:8 row_mask:0xf bank_mask:0xf bound_ctrl:1// 00000000359C: 7EEA02FA FF090865
	v_and_b32_e32 v101, v101, v9                               // 0000000035A4: 26CA1365
	v_mov_b32_dpp v118, v102 row_shl:8 row_mask:0xf bank_mask:0xf bound_ctrl:1// 0000000035A8: 7EEC02FA FF090866
	v_and_b32_e32 v102, v102, v9                               // 0000000035B0: 26CC1366
	v_mov_b32_dpp v119, v103 row_shl:8 row_mask:0xf bank_mask:0xf bound_ctrl:1// 0000000035B4: 7EEE02FA FF090867
	v_and_b32_e32 v103, v103, v9                               // 0000000035BC: 26CE1367
	v_mov_b32_dpp v120, v104 row_shl:8 row_mask:0xf bank_mask:0xf bound_ctrl:1// 0000000035C0: 7EF002FA FF090868
	v_and_b32_e32 v104, v104, v9                               // 0000000035C8: 26D01368
	v_mov_b32_dpp v121, v105 row_shl:8 row_mask:0xf bank_mask:0xf bound_ctrl:1// 0000000035CC: 7EF202FA FF090869
	v_and_b32_e32 v105, v105, v9                               // 0000000035D4: 26D21369
	v_mov_b32_dpp v122, v106 row_shl:8 row_mask:0xf bank_mask:0xf bound_ctrl:1// 0000000035D8: 7EF402FA FF09086A
	v_and_b32_e32 v106, v106, v9                               // 0000000035E0: 26D4136A
	v_mov_b32_dpp v123, v107 row_shl:8 row_mask:0xf bank_mask:0xf bound_ctrl:1// 0000000035E4: 7EF602FA FF09086B
	v_and_b32_e32 v107, v107, v9                               // 0000000035EC: 26D6136B
	v_mov_b32_dpp v124, v108 row_shl:8 row_mask:0xf bank_mask:0xf bound_ctrl:1// 0000000035F0: 7EF802FA FF09086C
	v_and_b32_e32 v108, v108, v9                               // 0000000035F8: 26D8136C
	v_mov_b32_dpp v125, v109 row_shl:8 row_mask:0xf bank_mask:0xf bound_ctrl:1// 0000000035FC: 7EFA02FA FF09086D
	v_and_b32_e32 v109, v109, v9                               // 000000003604: 26DA136D
	v_mov_b32_dpp v126, v110 row_shl:8 row_mask:0xf bank_mask:0xf bound_ctrl:1// 000000003608: 7EFC02FA FF09086E
	v_and_b32_e32 v110, v110, v9                               // 000000003610: 26DC136E
	v_mov_b32_dpp v127, v111 row_shl:8 row_mask:0xf bank_mask:0xf bound_ctrl:1// 000000003614: 7EFE02FA FF09086F
	v_and_b32_e32 v111, v111, v9                               // 00000000361C: 26DE136F
	buffer_load_dwordx4 a[156:159], v143, s[20:23], 0 offen    // 000000003620: E05C1000 80859C8F
	v_mul_f32_e32 v128, v49, v128                              // 000000003628: 0B010131
	v_mul_f32_e32 v129, v49, v129                              // 00000000362C: 0B030331
	v_mul_f32_e32 v130, v49, v130                              // 000000003630: 0B050531
	v_mul_f32_e32 v131, v49, v131                              // 000000003634: 0B070731
	v_mul_f32_e32 v132, v49, v132                              // 000000003638: 0B090931
	v_mul_f32_e32 v133, v49, v133                              // 00000000363C: 0B0B0B31
	v_mul_f32_e32 v134, v49, v134                              // 000000003640: 0B0D0D31
	v_mul_f32_e32 v135, v49, v135                              // 000000003644: 0B0F0F31
	s_waitcnt vmcnt(24)                                        // 000000003648: BF8C4F78
	v_mfma_f32_16x16x16_bf16 v[128:131], a[192:193], v[96:97], v[128:131]// 00000000364C: D3E10080 0E02C1C0
	v_mfma_f32_16x16x16_bf16 v[128:131], a[194:195], v[98:99], v[128:131]// 000000003654: D3E10080 0E02C5C2
	buffer_load_dwordx4 a[160:163], v136, s[20:23], 0 offen offset:1024// 00000000365C: E05C1400 8085A088
	v_mfma_f32_16x16x16_bf16 v[128:131], a[196:197], v[100:101], v[128:131]// 000000003664: D3E10080 0E02C9C4
	v_mfma_f32_16x16x16_bf16 v[128:131], a[198:199], v[102:103], v[128:131]// 00000000366C: D3E10080 0E02CDC6
	v_mfma_f32_16x16x16_bf16 v[128:131], a[200:201], v[104:105], v[128:131]// 000000003674: D3E10080 0E02D1C8
	v_mfma_f32_16x16x16_bf16 v[128:131], a[202:203], v[106:107], v[128:131]// 00000000367C: D3E10080 0E02D5CA
	buffer_load_dwordx4 a[164:167], v137, s[20:23], 0 offen offset:1024// 000000003684: E05C1400 8085A489
	v_mfma_f32_16x16x16_bf16 v[128:131], a[204:205], v[108:109], v[128:131]// 00000000368C: D3E10080 0E02D9CC
	v_mfma_f32_16x16x16_bf16 v[128:131], a[206:207], v[110:111], v[128:131]// 000000003694: D3E10080 0E02DDCE
	v_mfma_f32_16x16x16_bf16 v[128:131], a[208:209], v[112:113], v[128:131]// 00000000369C: D3E10080 0E02E1D0
	v_mfma_f32_16x16x16_bf16 v[128:131], a[210:211], v[114:115], v[128:131]// 0000000036A4: D3E10080 0E02E5D2
	buffer_load_dwordx4 a[168:171], v138, s[20:23], 0 offen offset:1024// 0000000036AC: E05C1400 8085A88A
	v_mfma_f32_16x16x16_bf16 v[128:131], a[212:213], v[116:117], v[128:131]// 0000000036B4: D3E10080 0E02E9D4
	v_mfma_f32_16x16x16_bf16 v[128:131], a[214:215], v[118:119], v[128:131]// 0000000036BC: D3E10080 0E02EDD6
	v_mfma_f32_16x16x16_bf16 v[128:131], a[216:217], v[120:121], v[128:131]// 0000000036C4: D3E10080 0E02F1D8
	v_mfma_f32_16x16x16_bf16 v[128:131], a[218:219], v[122:123], v[128:131]// 0000000036CC: D3E10080 0E02F5DA
	buffer_load_dwordx4 a[172:175], v139, s[20:23], 0 offen offset:1024// 0000000036D4: E05C1400 8085AC8B
	v_mfma_f32_16x16x16_bf16 v[128:131], a[220:221], v[124:125], v[128:131]// 0000000036DC: D3E10080 0E02F9DC
	v_mfma_f32_16x16x16_bf16 v[128:131], a[222:223], v[126:127], v[128:131]// 0000000036E4: D3E10080 0E02FDDE
	v_mfma_f32_16x16x16_bf16 v[132:135], a[224:225], v[96:97], v[132:135]// 0000000036EC: D3E10084 0E12C1E0
	v_mfma_f32_16x16x16_bf16 v[132:135], a[226:227], v[98:99], v[132:135]// 0000000036F4: D3E10084 0E12C5E2
	buffer_load_dwordx4 a[176:179], v140, s[20:23], 0 offen offset:1024// 0000000036FC: E05C1400 8085B08C
	v_mfma_f32_16x16x16_bf16 v[132:135], a[228:229], v[100:101], v[132:135]// 000000003704: D3E10084 0E12C9E4
	v_mfma_f32_16x16x16_bf16 v[132:135], a[230:231], v[102:103], v[132:135]// 00000000370C: D3E10084 0E12CDE6
	v_mfma_f32_16x16x16_bf16 v[132:135], a[232:233], v[104:105], v[132:135]// 000000003714: D3E10084 0E12D1E8
	v_mfma_f32_16x16x16_bf16 v[132:135], a[234:235], v[106:107], v[132:135]// 00000000371C: D3E10084 0E12D5EA
	buffer_load_dwordx4 a[180:183], v141, s[20:23], 0 offen offset:1024// 000000003724: E05C1400 8085B48D
	v_mfma_f32_16x16x16_bf16 v[132:135], a[236:237], v[108:109], v[132:135]// 00000000372C: D3E10084 0E12D9EC
	v_mfma_f32_16x16x16_bf16 v[132:135], a[238:239], v[110:111], v[132:135]// 000000003734: D3E10084 0E12DDEE
	v_mfma_f32_16x16x16_bf16 v[132:135], a[240:241], v[112:113], v[132:135]// 00000000373C: D3E10084 0E12E1F0
	v_mfma_f32_16x16x16_bf16 v[132:135], a[242:243], v[114:115], v[132:135]// 000000003744: D3E10084 0E12E5F2
	buffer_load_dwordx4 a[184:187], v142, s[20:23], 0 offen offset:1024// 00000000374C: E05C1400 8085B88E
	v_mfma_f32_16x16x16_bf16 v[132:135], a[244:245], v[116:117], v[132:135]// 000000003754: D3E10084 0E12E9F4
	v_mfma_f32_16x16x16_bf16 v[132:135], a[246:247], v[118:119], v[132:135]// 00000000375C: D3E10084 0E12EDF6
	v_mfma_f32_16x16x16_bf16 v[132:135], a[248:249], v[120:121], v[132:135]// 000000003764: D3E10084 0E12F1F8
	v_mfma_f32_16x16x16_bf16 v[132:135], a[250:251], v[122:123], v[132:135]// 00000000376C: D3E10084 0E12F5FA
	buffer_load_dwordx4 a[188:191], v143, s[20:23], 0 offen offset:1024// 000000003774: E05C1400 8085BC8F
	v_mfma_f32_16x16x16_bf16 v[132:135], a[252:253], v[124:125], v[132:135]// 00000000377C: D3E10084 0E12F9FC
	v_mfma_f32_16x16x16_bf16 v[132:135], a[254:255], v[126:127], v[132:135]// 000000003784: D3E10084 0E12FDFE
	s_lshr_b32 s60, s70, 4                                     // 00000000378C: 8F3C8446
	s_add_u32 s60, 48, s60                                     // 000000003790: 803C3CB0
	s_cmp_ge_u32 s60, s73                                      // 000000003794: BF09493C
	s_cselect_b32 s56, 0, s56                                  // 000000003798: 85383880
	v_mul_u32_u24_dpp v38, v17, v51 row_newbcast:0 row_mask:0xf bank_mask:0xf// 00000000379C: 104C66FA FF015011
	v_mul_u32_u24_dpp v39, v17, v51 row_newbcast:4 row_mask:0xf bank_mask:0xf// 0000000037A4: 104E66FA FF015411
	v_mul_u32_u24_dpp v40, v17, v51 row_newbcast:8 row_mask:0xf bank_mask:0xf// 0000000037AC: 105066FA FF015811
	v_mul_u32_u24_dpp v41, v17, v51 row_newbcast:12 row_mask:0xf bank_mask:0xf// 0000000037B4: 105266FA FF015C11
	v_add_u32_e32 v26, v38, v6                                 // 0000000037BC: 68340D26
	v_add_u32_e32 v27, v39, v6                                 // 0000000037C0: 68360D27
	v_add_u32_e32 v28, v40, v6                                 // 0000000037C4: 68380D28
	v_add_u32_e32 v29, v41, v6                                 // 0000000037C8: 683A0D29
	v_mul_u32_u24_dpp v38, v17, v51 row_newbcast:1 row_mask:0xf bank_mask:0xf// 0000000037CC: 104C66FA FF015111
	v_mul_u32_u24_dpp v39, v17, v51 row_newbcast:2 row_mask:0xf bank_mask:0xf// 0000000037D4: 104E66FA FF015211
	v_mul_u32_u24_dpp v40, v17, v51 row_newbcast:5 row_mask:0xf bank_mask:0xf// 0000000037DC: 105066FA FF015511
	v_mul_u32_u24_dpp v41, v17, v51 row_newbcast:6 row_mask:0xf bank_mask:0xf// 0000000037E4: 105266FA FF015611
	v_add_u32_e32 v144, v38, v7                                // 0000000037EC: 69200F26
	v_add_u32_e32 v145, v39, v7                                // 0000000037F0: 69220F27
	v_add_u32_e32 v146, v40, v7                                // 0000000037F4: 69240F28
	v_add_u32_e32 v147, v41, v7                                // 0000000037F8: 69260F29
	v_mul_u32_u24_dpp v38, v17, v51 row_newbcast:9 row_mask:0xf bank_mask:0xf// 0000000037FC: 104C66FA FF015911
	v_mul_u32_u24_dpp v39, v17, v51 row_newbcast:10 row_mask:0xf bank_mask:0xf// 000000003804: 104E66FA FF015A11
	v_mul_u32_u24_dpp v40, v17, v51 row_newbcast:13 row_mask:0xf bank_mask:0xf// 00000000380C: 105066FA FF015D11
	v_mul_u32_u24_dpp v41, v17, v51 row_newbcast:7 row_mask:0xf bank_mask:0xf// 000000003814: 105266FA FF015711
	v_add_u32_e32 v148, v38, v7                                // 00000000381C: 69280F26
	v_add_u32_e32 v149, v39, v7                                // 000000003820: 692A0F27
	v_add_u32_e32 v150, v40, v7                                // 000000003824: 692C0F28
	v_add_u32_e32 v151, v41, v7                                // 000000003828: 692E0F29
	v_add_u32_e32 v1, s56, v1                                  // 00000000382C: 68020238
	s_addk_i32 s70, 0x100                                      // 000000003830: B7460100
	s_cmp_lt_i32 s70, s71                                      // 000000003834: BF044746
	s_cbranch_scc0 label_0590                                  // 000000003838: BF840001
	s_branch label_01A3                                        // 00000000383C: BF82FC13

0000000000003840 <label_0590>:
	s_nop 0                                                    // 000000003840: BF800000
	s_nop 0                                                    // 000000003844: BF800000
	s_branch label_0980                                        // 000000003848: BF8203ED

000000000000384c <label_0593>:
	s_waitcnt vmcnt(16) lgkmcnt(0)                             // 00000000384C: BF8C4070
	v_mfma_f32_16x16x16_bf16 v[96:99], a[0:1], v[80:81], 0     // 000000003850: D3E10060 0A02A100
	buffer_load_dwordx4 a[64:67], v26, s[16:19], 0 offen       // 000000003858: E05C1000 8084401A
	v_mfma_f32_16x16x16_bf16 v[96:99], a[2:3], v[82:83], v[96:99]// 000000003860: D3E10060 0D82A502
	v_mfma_f32_16x16x16_bf16 v[96:99], a[4:5], v[84:85], v[96:99]// 000000003868: D3E10060 0D82A904
	buffer_load_dword v16, v1, s[24:27], 0 offen               // 000000003870: E0501000 80061001
	v_mfma_f32_16x16x16_bf16 v[96:99], a[6:7], v[86:87], v[96:99]// 000000003878: D3E10060 0D82AD06
	v_mfma_f32_16x16x16_bf16 v[96:99], a[8:9], v[88:89], v[96:99]// 000000003880: D3E10060 0D82B108
	buffer_load_dwordx4 a[68:71], v26, s[16:19], 0 offen offset:1024// 000000003888: E05C1400 8084441A
	v_mfma_f32_16x16x16_bf16 v[96:99], a[10:11], v[90:91], v[96:99]// 000000003890: D3E10060 0D82B50A
	v_mfma_f32_16x16x16_bf16 v[96:99], a[12:13], v[92:93], v[96:99]// 000000003898: D3E10060 0D82B90C
	v_mfma_f32_16x16x16_bf16 v[96:99], a[14:15], v[94:95], v[96:99]// 0000000038A0: D3E10060 0D82BD0E
	v_mfma_f32_16x16x16_bf16 v[100:103], a[16:17], v[80:81], 0 // 0000000038A8: D3E10064 0A02A110
	buffer_load_dwordx4 a[72:75], v26, s[16:19], 0 offen offset:2048// 0000000038B0: E05C1800 8084481A
	v_mfma_f32_16x16x16_bf16 v[100:103], a[18:19], v[82:83], v[100:103]// 0000000038B8: D3E10064 0D92A512
	v_mfma_f32_16x16x16_bf16 v[100:103], a[20:21], v[84:85], v[100:103]// 0000000038C0: D3E10064 0D92A914
	v_mfma_f32_16x16x16_bf16 v[100:103], a[22:23], v[86:87], v[100:103]// 0000000038C8: D3E10064 0D92AD16
	v_mfma_f32_16x16x16_bf16 v[100:103], a[24:25], v[88:89], v[100:103]// 0000000038D0: D3E10064 0D92B118
	buffer_load_dwordx4 a[76:79], v26, s[16:19], 0 offen offset:3072// 0000000038D8: E05C1C00 80844C1A
	v_mfma_f32_16x16x16_bf16 v[100:103], a[26:27], v[90:91], v[100:103]// 0000000038E0: D3E10064 0D92B51A
	v_mfma_f32_16x16x16_bf16 v[100:103], a[28:29], v[92:93], v[100:103]// 0000000038E8: D3E10064 0D92B91C
	v_mfma_f32_16x16x16_bf16 v[100:103], a[30:31], v[94:95], v[100:103]// 0000000038F0: D3E10064 0D92BD1E
	v_mfma_f32_16x16x16_bf16 v[104:107], a[32:33], v[80:81], 0 // 0000000038F8: D3E10068 0A02A120
	buffer_load_dwordx4 a[80:83], v27, s[16:19], 0 offen       // 000000003900: E05C1000 8084501B
	v_mfma_f32_16x16x16_bf16 v[104:107], a[34:35], v[82:83], v[104:107]// 000000003908: D3E10068 0DA2A522
	v_mfma_f32_16x16x16_bf16 v[104:107], a[36:37], v[84:85], v[104:107]// 000000003910: D3E10068 0DA2A924
	v_mfma_f32_16x16x16_bf16 v[104:107], a[38:39], v[86:87], v[104:107]// 000000003918: D3E10068 0DA2AD26
	v_mfma_f32_16x16x16_bf16 v[104:107], a[40:41], v[88:89], v[104:107]// 000000003920: D3E10068 0DA2B128
	buffer_load_dwordx4 a[84:87], v27, s[16:19], 0 offen offset:1024// 000000003928: E05C1400 8084541B
	v_mfma_f32_16x16x16_bf16 v[104:107], a[42:43], v[90:91], v[104:107]// 000000003930: D3E10068 0DA2B52A
	v_mfma_f32_16x16x16_bf16 v[104:107], a[44:45], v[92:93], v[104:107]// 000000003938: D3E10068 0DA2B92C
	v_mfma_f32_16x16x16_bf16 v[104:107], a[46:47], v[94:95], v[104:107]// 000000003940: D3E10068 0DA2BD2E
	v_mfma_f32_16x16x16_bf16 v[108:111], a[48:49], v[80:81], 0 // 000000003948: D3E1006C 0A02A130
	buffer_load_dwordx4 a[88:91], v27, s[16:19], 0 offen offset:2048// 000000003950: E05C1800 8084581B
	v_mfma_f32_16x16x16_bf16 v[108:111], a[50:51], v[82:83], v[108:111]// 000000003958: D3E1006C 0DB2A532
	v_mfma_f32_16x16x16_bf16 v[108:111], a[52:53], v[84:85], v[108:111]// 000000003960: D3E1006C 0DB2A934
	v_mfma_f32_16x16x16_bf16 v[108:111], a[54:55], v[86:87], v[108:111]// 000000003968: D3E1006C 0DB2AD36
	v_mfma_f32_16x16x16_bf16 v[108:111], a[56:57], v[88:89], v[108:111]// 000000003970: D3E1006C 0DB2B138
	buffer_load_dwordx4 a[92:95], v27, s[16:19], 0 offen offset:3072// 000000003978: E05C1C00 80845C1B
	v_mfma_f32_16x16x16_bf16 v[108:111], a[58:59], v[90:91], v[108:111]// 000000003980: D3E1006C 0DB2B53A
	v_mfma_f32_16x16x16_bf16 v[108:111], a[60:61], v[92:93], v[108:111]// 000000003988: D3E1006C 0DB2B93C
	v_mfma_f32_16x16x16_bf16 v[108:111], a[62:63], v[94:95], v[108:111]// 000000003990: D3E1006C 0DB2BD3E
	buffer_load_dwordx4 a[96:99], v28, s[16:19], 0 offen       // 000000003998: E05C1000 8084601C
	s_nop 8                                                    // 0000000039A0: BF800008
	v_or_b32_dpp v96, v104, v96 row_shr:8 row_mask:0xf bank_mask:0xf bound_ctrl:1// 0000000039A4: 28C0C0FA FF091868
	v_or_b32_dpp v97, v105, v97 row_shr:8 row_mask:0xf bank_mask:0xf bound_ctrl:1// 0000000039AC: 28C2C2FA FF091869
	v_or_b32_dpp v98, v106, v98 row_shr:8 row_mask:0xf bank_mask:0xf bound_ctrl:1// 0000000039B4: 28C4C4FA FF09186A
	v_or_b32_dpp v99, v107, v99 row_shr:8 row_mask:0xf bank_mask:0xf bound_ctrl:1// 0000000039BC: 28C6C6FA FF09186B
	v_or_b32_dpp v100, v108, v100 row_shr:8 row_mask:0xf bank_mask:0xf bound_ctrl:1// 0000000039C4: 28C8C8FA FF09186C
	v_or_b32_dpp v101, v109, v101 row_shr:8 row_mask:0xf bank_mask:0xf bound_ctrl:1// 0000000039CC: 28CACAFA FF09186D
	v_or_b32_dpp v102, v110, v102 row_shr:8 row_mask:0xf bank_mask:0xf bound_ctrl:1// 0000000039D4: 28CCCCFA FF09186E
	v_or_b32_dpp v103, v111, v103 row_shr:8 row_mask:0xf bank_mask:0xf bound_ctrl:1// 0000000039DC: 28CECEFA FF09186F
	buffer_load_dwordx4 a[100:103], v28, s[16:19], 0 offen offset:1024// 0000000039E4: E05C1400 8084641C
	v_mov_b32_e32 v48, v96                                     // 0000000039EC: 7E600360
	v_max3_f32 v48, v96, v97, v48                              // 0000000039F0: D1D30030 04C2C360
	v_max3_f32 v48, v98, v99, v48                              // 0000000039F8: D1D30030 04C2C762
	v_max3_f32 v48, v100, v101, v48                            // 000000003A00: D1D30030 04C2CB64
	v_max3_f32 v48, v102, v103, v48                            // 000000003A08: D1D30030 04C2CF66
	ds_write_b32 v11, v48 offset:4224                          // 000000003A10: D81A1080 0000300B
	buffer_load_dwordx4 a[104:107], v28, s[16:19], 0 offen offset:2048// 000000003A18: E05C1800 8084681C
	s_waitcnt lgkmcnt(0)                                       // 000000003A20: BF8CC07F
	s_barrier                                                  // 000000003A24: BF8A0000
	ds_read_b32 v64, v10 offset:4224                           // 000000003A28: D86C1080 4000000A
	buffer_load_dwordx4 a[108:111], v28, s[16:19], 0 offen offset:3072// 000000003A30: E05C1C00 80846C1C
	ds_read_b32 v65, v10 offset:4288                           // 000000003A38: D86C10C0 4100000A
	ds_read_b32 v66, v10 offset:4352                           // 000000003A40: D86C1100 4200000A
	ds_read_b32 v67, v10 offset:4416                           // 000000003A48: D86C1140 4300000A
	ds_read_b32 v68, v10 offset:4480                           // 000000003A50: D86C1180 4400000A
	ds_read_b32 v69, v10 offset:4544                           // 000000003A58: D86C11C0 4500000A
	ds_read_b32 v70, v10 offset:4608                           // 000000003A60: D86C1200 4600000A
	ds_read_b32 v71, v10 offset:4672                           // 000000003A68: D86C1240 4700000A
	ds_read_b32 v72, v10 offset:4736                           // 000000003A70: D86C1280 4800000A
	buffer_load_dwordx4 a[112:115], v29, s[16:19], 0 offen     // 000000003A78: E05C1000 8084701D
	ds_read_b32 v73, v10 offset:4800                           // 000000003A80: D86C12C0 4900000A
	ds_read_b32 v74, v10 offset:4864                           // 000000003A88: D86C1300 4A00000A
	ds_read_b32 v75, v10 offset:4928                           // 000000003A90: D86C1340 4B00000A
	ds_read_b32 v76, v10 offset:4992                           // 000000003A98: D86C1380 4C00000A
	ds_read_b32 v77, v10 offset:5056                           // 000000003AA0: D86C13C0 4D00000A
	ds_read_b32 v78, v10 offset:5120                           // 000000003AA8: D86C1400 4E00000A
	ds_read_b32 v79, v10 offset:5184                           // 000000003AB0: D86C1440 4F00000A
	buffer_load_dwordx4 a[116:119], v29, s[16:19], 0 offen offset:1024// 000000003AB8: E05C1400 8084741D
	buffer_load_dwordx4 a[120:123], v29, s[16:19], 0 offen offset:2048// 000000003AC0: E05C1800 8084781D
	s_waitcnt lgkmcnt(0)                                       // 000000003AC8: BF8CC07F
	v_max3_f32 v48, v64, v65, v48                              // 000000003ACC: D1D30030 04C28340
	v_max3_f32 v48, v66, v67, v48                              // 000000003AD4: D1D30030 04C28742
	v_max3_f32 v48, v68, v69, v48                              // 000000003ADC: D1D30030 04C28B44
	v_max3_f32 v48, v70, v71, v48                              // 000000003AE4: D1D30030 04C28F46
	v_max3_f32 v48, v72, v73, v48                              // 000000003AEC: D1D30030 04C29348
	v_max3_f32 v48, v74, v75, v48                              // 000000003AF4: D1D30030 04C2974A
	v_max3_f32 v48, v76, v77, v48                              // 000000003AFC: D1D30030 04C29B4C
	v_max3_f32 v48, v78, v79, v48                              // 000000003B04: D1D30030 04C29F4E
	buffer_load_dwordx4 a[124:127], v29, s[16:19], 0 offen offset:3072// 000000003B0C: E05C1C00 80847C1D
	v_cmp_eq_u32_e64 s[40:41], v52, v14                        // 000000003B14: D0CA0028 00021D34
	s_nop 1                                                    // 000000003B1C: BF800001
	v_mov_b32_dpp v38, v48 row_ror:8 row_mask:0xf bank_mask:0xf// 000000003B20: 7E4C02FA FF012830
	v_max_f32_e32 v48, v48, v38                                // 000000003B28: 16604D30
	v_max_f32_e32 v15, v48, v14                                // 000000003B2C: 161E1D30
	v_sub_f32_e32 v49, v14, v15                                // 000000003B30: 04621F0E
	v_cndmask_b32_e64 v49, v49, 0, s[40:41]                    // 000000003B34: D1000031 00A10131
	v_mov_b32_e32 v14, v15                                     // 000000003B3C: 7E1C030F
	v_mul_f32_e32 v50, s64, v15                                // 000000003B40: 0A641E40
	v_mul_f32_e32 v49, s64, v49                                // 000000003B44: 0A626240
	v_exp_f32_e32 v49, v49                                     // 000000003B48: 7E624131
	buffer_load_dwordx4 a[192:195], v144, s[20:23], 0 offen    // 000000003B4C: E05C1000 8085C090
	v_fma_f32 v96, v96, s64, -v50                              // 000000003B54: D1CB0060 84C88160
	v_fma_f32 v97, v97, s64, -v50                              // 000000003B5C: D1CB0061 84C88161
	v_fma_f32 v98, v98, s64, -v50                              // 000000003B64: D1CB0062 84C88162
	v_fma_f32 v99, v99, s64, -v50                              // 000000003B6C: D1CB0063 84C88163
	v_fma_f32 v100, v100, s64, -v50                            // 000000003B74: D1CB0064 84C88164
	v_fma_f32 v101, v101, s64, -v50                            // 000000003B7C: D1CB0065 84C88165
	v_fma_f32 v102, v102, s64, -v50                            // 000000003B84: D1CB0066 84C88166
	v_fma_f32 v103, v103, s64, -v50                            // 000000003B8C: D1CB0067 84C88167
	v_exp_f32_e32 v96, v96                                     // 000000003B94: 7EC04160
	v_exp_f32_e32 v97, v97                                     // 000000003B98: 7EC24161
	v_exp_f32_e32 v98, v98                                     // 000000003B9C: 7EC44162
	v_exp_f32_e32 v99, v99                                     // 000000003BA0: 7EC64163
	v_exp_f32_e32 v100, v100                                   // 000000003BA4: 7EC84164
	v_exp_f32_e32 v101, v101                                   // 000000003BA8: 7ECA4165
	v_exp_f32_e32 v102, v102                                   // 000000003BAC: 7ECC4166
	v_exp_f32_e32 v103, v103                                   // 000000003BB0: 7ECE4167
	buffer_load_dwordx4 a[196:199], v145, s[20:23], 0 offen    // 000000003BB4: E05C1000 8085C491
	v_mul_f32_e32 v42, v49, v42                                // 000000003BBC: 0A545531
	v_mov_b32_e32 v43, v96                                     // 000000003BC0: 7E560360
	v_add_f32_e32 v43, v97, v43                                // 000000003BC4: 02565761
	v_add_f32_e32 v43, v98, v43                                // 000000003BC8: 02565762
	v_add_f32_e32 v43, v99, v43                                // 000000003BCC: 02565763
	v_add_f32_e32 v43, v100, v43                               // 000000003BD0: 02565764
	v_add_f32_e32 v43, v101, v43                               // 000000003BD4: 02565765
	v_add_f32_e32 v43, v102, v43                               // 000000003BD8: 02565766
	v_add_f32_e32 v43, v103, v43                               // 000000003BDC: 02565767
	v_add_f32_e32 v42, v43, v42                                // 000000003BE0: 0254552B
	buffer_load_dwordx4 a[200:203], v146, s[20:23], 0 offen    // 000000003BE4: E05C1000 8085C892
	v_cmp_u_f32_e64 s[40:41], v96, v96                         // 000000003BEC: D0480028 0002C160
	v_add3_u32 v18, v96, v21, 1                                // 000000003BF4: D1FF0012 02062B60
	v_cndmask_b32_e64 v38, v18, v20, s[40:41]                  // 000000003BFC: D1000026 00A22912
	v_cmp_u_f32_e64 s[40:41], v97, v97                         // 000000003C04: D0480028 0002C361
	v_add3_u32 v18, v97, v21, 1                                // 000000003C0C: D1FF0012 02062B61
	v_cndmask_b32_e64 v39, v18, v20, s[40:41]                  // 000000003C14: D1000027 00A22912
	v_perm_b32 v96, v39, v38, s52                              // 000000003C1C: D1ED0060 00D24D27
	v_cmp_u_f32_e64 s[40:41], v98, v98                         // 000000003C24: D0480028 0002C562
	v_add3_u32 v18, v98, v21, 1                                // 000000003C2C: D1FF0012 02062B62
	v_cndmask_b32_e64 v38, v18, v20, s[40:41]                  // 000000003C34: D1000026 00A22912
	v_cmp_u_f32_e64 s[40:41], v99, v99                         // 000000003C3C: D0480028 0002C763
	v_add3_u32 v18, v99, v21, 1                                // 000000003C44: D1FF0012 02062B63
	v_cndmask_b32_e64 v39, v18, v20, s[40:41]                  // 000000003C4C: D1000027 00A22912
	v_perm_b32 v97, v39, v38, s52                              // 000000003C54: D1ED0061 00D24D27
	v_cmp_u_f32_e64 s[40:41], v100, v100                       // 000000003C5C: D0480028 0002C964
	v_add3_u32 v18, v100, v21, 1                               // 000000003C64: D1FF0012 02062B64
	v_cndmask_b32_e64 v38, v18, v20, s[40:41]                  // 000000003C6C: D1000026 00A22912
	v_cmp_u_f32_e64 s[40:41], v101, v101                       // 000000003C74: D0480028 0002CB65
	v_add3_u32 v18, v101, v21, 1                               // 000000003C7C: D1FF0012 02062B65
	v_cndmask_b32_e64 v39, v18, v20, s[40:41]                  // 000000003C84: D1000027 00A22912
	v_perm_b32 v98, v39, v38, s52                              // 000000003C8C: D1ED0062 00D24D27
	v_cmp_u_f32_e64 s[40:41], v102, v102                       // 000000003C94: D0480028 0002CD66
	v_add3_u32 v18, v102, v21, 1                               // 000000003C9C: D1FF0012 02062B66
	v_cndmask_b32_e64 v38, v18, v20, s[40:41]                  // 000000003CA4: D1000026 00A22912
	v_cmp_u_f32_e64 s[40:41], v103, v103                       // 000000003CAC: D0480028 0002CF67
	v_add3_u32 v18, v103, v21, 1                               // 000000003CB4: D1FF0012 02062B67
	v_cndmask_b32_e64 v39, v18, v20, s[40:41]                  // 000000003CBC: D1000027 00A22912
	v_perm_b32 v99, v39, v38, s52                              // 000000003CC4: D1ED0063 00D24D27
	buffer_load_dwordx4 a[204:207], v147, s[20:23], 0 offen    // 000000003CCC: E05C1000 8085CC93
	buffer_load_dwordx4 a[208:211], v148, s[20:23], 0 offen    // 000000003CD4: E05C1000 8085D094
	ds_write_b64 v13, v[96:97] offset:5248                     // 000000003CDC: D89A1480 0000600D
	ds_write_b64 v13, v[98:99] offset:7296                     // 000000003CE4: D89A1C80 0000620D
	buffer_load_dwordx4 a[212:215], v149, s[20:23], 0 offen    // 000000003CEC: E05C1000 8085D495
	s_waitcnt lgkmcnt(0)                                       // 000000003CF4: BF8CC07F
	s_barrier                                                  // 000000003CF8: BF8A0000
	ds_read_b64 v[96:97], v12 offset:5248                      // 000000003CFC: D8EC1480 6000000C
	ds_read_b64 v[98:99], v12 offset:5376                      // 000000003D04: D8EC1500 6200000C
	ds_read_b64 v[100:101], v12 offset:6272                    // 000000003D0C: D8EC1880 6400000C
	ds_read_b64 v[102:103], v12 offset:6400                    // 000000003D14: D8EC1900 6600000C
	ds_read_b64 v[104:105], v12 offset:7296                    // 000000003D1C: D8EC1C80 6800000C
	ds_read_b64 v[106:107], v12 offset:7424                    // 000000003D24: D8EC1D00 6A00000C
	ds_read_b64 v[108:109], v12 offset:8320                    // 000000003D2C: D8EC2080 6C00000C
	ds_read_b64 v[110:111], v12 offset:8448                    // 000000003D34: D8EC2100 6E00000C
	buffer_load_dwordx4 a[216:219], v150, s[20:23], 0 offen    // 000000003D3C: E05C1000 8085D896
	s_waitcnt lgkmcnt(0)                                       // 000000003D44: BF8CC07F
	v_mov_b32_dpp v112, v96 row_shl:8 row_mask:0xf bank_mask:0xf bound_ctrl:1// 000000003D48: 7EE002FA FF090860
	v_and_b32_e32 v96, v96, v9                                 // 000000003D50: 26C01360
	v_mov_b32_dpp v113, v97 row_shl:8 row_mask:0xf bank_mask:0xf bound_ctrl:1// 000000003D54: 7EE202FA FF090861
	v_and_b32_e32 v97, v97, v9                                 // 000000003D5C: 26C21361
	v_mov_b32_dpp v114, v98 row_shl:8 row_mask:0xf bank_mask:0xf bound_ctrl:1// 000000003D60: 7EE402FA FF090862
	v_and_b32_e32 v98, v98, v9                                 // 000000003D68: 26C41362
	v_mov_b32_dpp v115, v99 row_shl:8 row_mask:0xf bank_mask:0xf bound_ctrl:1// 000000003D6C: 7EE602FA FF090863
	v_and_b32_e32 v99, v99, v9                                 // 000000003D74: 26C61363
	v_mov_b32_dpp v116, v100 row_shl:8 row_mask:0xf bank_mask:0xf bound_ctrl:1// 000000003D78: 7EE802FA FF090864
	v_and_b32_e32 v100, v100, v9                               // 000000003D80: 26C81364
	v_mov_b32_dpp v117, v101 row_shl:8 row_mask:0xf bank_mask:0xf bound_ctrl:1// 000000003D84: 7EEA02FA FF090865
	v_and_b32_e32 v101, v101, v9                               // 000000003D8C: 26CA1365
	v_mov_b32_dpp v118, v102 row_shl:8 row_mask:0xf bank_mask:0xf bound_ctrl:1// 000000003D90: 7EEC02FA FF090866
	v_and_b32_e32 v102, v102, v9                               // 000000003D98: 26CC1366
	v_mov_b32_dpp v119, v103 row_shl:8 row_mask:0xf bank_mask:0xf bound_ctrl:1// 000000003D9C: 7EEE02FA FF090867
	v_and_b32_e32 v103, v103, v9                               // 000000003DA4: 26CE1367
	v_mov_b32_dpp v120, v104 row_shl:8 row_mask:0xf bank_mask:0xf bound_ctrl:1// 000000003DA8: 7EF002FA FF090868
	v_and_b32_e32 v104, v104, v9                               // 000000003DB0: 26D01368
	v_mov_b32_dpp v121, v105 row_shl:8 row_mask:0xf bank_mask:0xf bound_ctrl:1// 000000003DB4: 7EF202FA FF090869
	v_and_b32_e32 v105, v105, v9                               // 000000003DBC: 26D21369
	v_mov_b32_dpp v122, v106 row_shl:8 row_mask:0xf bank_mask:0xf bound_ctrl:1// 000000003DC0: 7EF402FA FF09086A
	v_and_b32_e32 v106, v106, v9                               // 000000003DC8: 26D4136A
	v_mov_b32_dpp v123, v107 row_shl:8 row_mask:0xf bank_mask:0xf bound_ctrl:1// 000000003DCC: 7EF602FA FF09086B
	v_and_b32_e32 v107, v107, v9                               // 000000003DD4: 26D6136B
	v_mov_b32_dpp v124, v108 row_shl:8 row_mask:0xf bank_mask:0xf bound_ctrl:1// 000000003DD8: 7EF802FA FF09086C
	v_and_b32_e32 v108, v108, v9                               // 000000003DE0: 26D8136C
	v_mov_b32_dpp v125, v109 row_shl:8 row_mask:0xf bank_mask:0xf bound_ctrl:1// 000000003DE4: 7EFA02FA FF09086D
	v_and_b32_e32 v109, v109, v9                               // 000000003DEC: 26DA136D
	v_mov_b32_dpp v126, v110 row_shl:8 row_mask:0xf bank_mask:0xf bound_ctrl:1// 000000003DF0: 7EFC02FA FF09086E
	v_and_b32_e32 v110, v110, v9                               // 000000003DF8: 26DC136E
	v_mov_b32_dpp v127, v111 row_shl:8 row_mask:0xf bank_mask:0xf bound_ctrl:1// 000000003DFC: 7EFE02FA FF09086F
	v_and_b32_e32 v111, v111, v9                               // 000000003E04: 26DE136F
	buffer_load_dwordx4 a[220:223], v151, s[20:23], 0 offen    // 000000003E08: E05C1000 8085DC97
	v_mul_f32_e32 v128, v49, v128                              // 000000003E10: 0B010131
	v_mul_f32_e32 v129, v49, v129                              // 000000003E14: 0B030331
	v_mul_f32_e32 v130, v49, v130                              // 000000003E18: 0B050531
	v_mul_f32_e32 v131, v49, v131                              // 000000003E1C: 0B070731
	v_mul_f32_e32 v132, v49, v132                              // 000000003E20: 0B090931
	v_mul_f32_e32 v133, v49, v133                              // 000000003E24: 0B0B0B31
	v_mul_f32_e32 v134, v49, v134                              // 000000003E28: 0B0D0D31
	v_mul_f32_e32 v135, v49, v135                              // 000000003E2C: 0B0F0F31
	s_waitcnt vmcnt(24)                                        // 000000003E30: BF8C4F78
	v_mfma_f32_16x16x16_bf16 v[128:131], a[128:129], v[96:97], v[128:131]// 000000003E34: D3E10080 0E02C180
	buffer_load_dwordx4 a[224:227], v144, s[20:23], 0 offen offset:1024// 000000003E3C: E05C1400 8085E090
	v_mfma_f32_16x16x16_bf16 v[128:131], a[130:131], v[98:99], v[128:131]// 000000003E44: D3E10080 0E02C582
	v_mfma_f32_16x16x16_bf16 v[128:131], a[132:133], v[100:101], v[128:131]// 000000003E4C: D3E10080 0E02C984
	v_mfma_f32_16x16x16_bf16 v[128:131], a[134:135], v[102:103], v[128:131]// 000000003E54: D3E10080 0E02CD86
	v_mfma_f32_16x16x16_bf16 v[128:131], a[136:137], v[104:105], v[128:131]// 000000003E5C: D3E10080 0E02D188
	buffer_load_dwordx4 a[228:231], v145, s[20:23], 0 offen offset:1024// 000000003E64: E05C1400 8085E491
	v_mfma_f32_16x16x16_bf16 v[128:131], a[138:139], v[106:107], v[128:131]// 000000003E6C: D3E10080 0E02D58A
	v_mfma_f32_16x16x16_bf16 v[128:131], a[140:141], v[108:109], v[128:131]// 000000003E74: D3E10080 0E02D98C
	v_mfma_f32_16x16x16_bf16 v[128:131], a[142:143], v[110:111], v[128:131]// 000000003E7C: D3E10080 0E02DD8E
	v_mfma_f32_16x16x16_bf16 v[128:131], a[144:145], v[112:113], v[128:131]// 000000003E84: D3E10080 0E02E190
	buffer_load_dwordx4 a[232:235], v146, s[20:23], 0 offen offset:1024// 000000003E8C: E05C1400 8085E892
	v_mfma_f32_16x16x16_bf16 v[128:131], a[146:147], v[114:115], v[128:131]// 000000003E94: D3E10080 0E02E592
	v_mfma_f32_16x16x16_bf16 v[128:131], a[148:149], v[116:117], v[128:131]// 000000003E9C: D3E10080 0E02E994
	v_mfma_f32_16x16x16_bf16 v[128:131], a[150:151], v[118:119], v[128:131]// 000000003EA4: D3E10080 0E02ED96
	v_mfma_f32_16x16x16_bf16 v[128:131], a[152:153], v[120:121], v[128:131]// 000000003EAC: D3E10080 0E02F198
	buffer_load_dwordx4 a[236:239], v147, s[20:23], 0 offen offset:1024// 000000003EB4: E05C1400 8085EC93
	v_mfma_f32_16x16x16_bf16 v[128:131], a[154:155], v[122:123], v[128:131]// 000000003EBC: D3E10080 0E02F59A
	v_mfma_f32_16x16x16_bf16 v[128:131], a[156:157], v[124:125], v[128:131]// 000000003EC4: D3E10080 0E02F99C
	v_mfma_f32_16x16x16_bf16 v[128:131], a[158:159], v[126:127], v[128:131]// 000000003ECC: D3E10080 0E02FD9E
	v_mfma_f32_16x16x16_bf16 v[132:135], a[160:161], v[96:97], v[132:135]// 000000003ED4: D3E10084 0E12C1A0
	buffer_load_dwordx4 a[240:243], v148, s[20:23], 0 offen offset:1024// 000000003EDC: E05C1400 8085F094
	v_mfma_f32_16x16x16_bf16 v[132:135], a[162:163], v[98:99], v[132:135]// 000000003EE4: D3E10084 0E12C5A2
	v_mfma_f32_16x16x16_bf16 v[132:135], a[164:165], v[100:101], v[132:135]// 000000003EEC: D3E10084 0E12C9A4
	v_mfma_f32_16x16x16_bf16 v[132:135], a[166:167], v[102:103], v[132:135]// 000000003EF4: D3E10084 0E12CDA6
	v_mfma_f32_16x16x16_bf16 v[132:135], a[168:169], v[104:105], v[132:135]// 000000003EFC: D3E10084 0E12D1A8
	buffer_load_dwordx4 a[244:247], v149, s[20:23], 0 offen offset:1024// 000000003F04: E05C1400 8085F495
	v_mfma_f32_16x16x16_bf16 v[132:135], a[170:171], v[106:107], v[132:135]// 000000003F0C: D3E10084 0E12D5AA
	v_mfma_f32_16x16x16_bf16 v[132:135], a[172:173], v[108:109], v[132:135]// 000000003F14: D3E10084 0E12D9AC
	v_mfma_f32_16x16x16_bf16 v[132:135], a[174:175], v[110:111], v[132:135]// 000000003F1C: D3E10084 0E12DDAE
	v_mfma_f32_16x16x16_bf16 v[132:135], a[176:177], v[112:113], v[132:135]// 000000003F24: D3E10084 0E12E1B0
	buffer_load_dwordx4 a[248:251], v150, s[20:23], 0 offen offset:1024// 000000003F2C: E05C1400 8085F896
	v_mfma_f32_16x16x16_bf16 v[132:135], a[178:179], v[114:115], v[132:135]// 000000003F34: D3E10084 0E12E5B2
	v_mfma_f32_16x16x16_bf16 v[132:135], a[180:181], v[116:117], v[132:135]// 000000003F3C: D3E10084 0E12E9B4
	v_mfma_f32_16x16x16_bf16 v[132:135], a[182:183], v[118:119], v[132:135]// 000000003F44: D3E10084 0E12EDB6
	v_mfma_f32_16x16x16_bf16 v[132:135], a[184:185], v[120:121], v[132:135]// 000000003F4C: D3E10084 0E12F1B8
	buffer_load_dwordx4 a[252:255], v151, s[20:23], 0 offen offset:1024// 000000003F54: E05C1400 8085FC97
	v_mfma_f32_16x16x16_bf16 v[132:135], a[186:187], v[122:123], v[132:135]// 000000003F5C: D3E10084 0E12F5BA
	v_mfma_f32_16x16x16_bf16 v[132:135], a[188:189], v[124:125], v[132:135]// 000000003F64: D3E10084 0E12F9BC
	v_mfma_f32_16x16x16_bf16 v[132:135], a[190:191], v[126:127], v[132:135]// 000000003F6C: D3E10084 0E12FDBE
	s_lshr_b32 s60, s70, 4                                     // 000000003F74: 8F3C8446
	s_add_u32 s60, 48, s60                                     // 000000003F78: 803C3CB0
	s_cmp_ge_u32 s60, s73                                      // 000000003F7C: BF09493C
	s_cselect_b32 s56, 0, s56                                  // 000000003F80: 85383880
	v_mul_u32_u24_dpp v38, v16, v51 row_newbcast:0 row_mask:0xf bank_mask:0xf// 000000003F84: 104C66FA FF015010
	v_mul_u32_u24_dpp v39, v16, v51 row_newbcast:4 row_mask:0xf bank_mask:0xf// 000000003F8C: 104E66FA FF015410
	v_mul_u32_u24_dpp v40, v16, v51 row_newbcast:8 row_mask:0xf bank_mask:0xf// 000000003F94: 105066FA FF015810
	v_mul_u32_u24_dpp v41, v16, v51 row_newbcast:12 row_mask:0xf bank_mask:0xf// 000000003F9C: 105266FA FF015C10
	v_add_u32_e32 v22, v38, v6                                 // 000000003FA4: 682C0D26
	v_add_u32_e32 v23, v39, v6                                 // 000000003FA8: 682E0D27
	v_add_u32_e32 v24, v40, v6                                 // 000000003FAC: 68300D28
	v_add_u32_e32 v25, v41, v6                                 // 000000003FB0: 68320D29
	v_mul_u32_u24_dpp v38, v16, v51 row_newbcast:1 row_mask:0xf bank_mask:0xf// 000000003FB4: 104C66FA FF015110
	v_mul_u32_u24_dpp v39, v16, v51 row_newbcast:2 row_mask:0xf bank_mask:0xf// 000000003FBC: 104E66FA FF015210
	v_mul_u32_u24_dpp v40, v16, v51 row_newbcast:5 row_mask:0xf bank_mask:0xf// 000000003FC4: 105066FA FF015510
	v_mul_u32_u24_dpp v41, v16, v51 row_newbcast:6 row_mask:0xf bank_mask:0xf// 000000003FCC: 105266FA FF015610
	v_add_u32_e32 v136, v38, v7                                // 000000003FD4: 69100F26
	v_add_u32_e32 v137, v39, v7                                // 000000003FD8: 69120F27
	v_add_u32_e32 v138, v40, v7                                // 000000003FDC: 69140F28
	v_add_u32_e32 v139, v41, v7                                // 000000003FE0: 69160F29
	v_mul_u32_u24_dpp v38, v16, v51 row_newbcast:9 row_mask:0xf bank_mask:0xf// 000000003FE4: 104C66FA FF015910
	v_mul_u32_u24_dpp v39, v16, v51 row_newbcast:10 row_mask:0xf bank_mask:0xf// 000000003FEC: 104E66FA FF015A10
	v_mul_u32_u24_dpp v40, v16, v51 row_newbcast:13 row_mask:0xf bank_mask:0xf// 000000003FF4: 105066FA FF015D10
	v_mul_u32_u24_dpp v41, v16, v51 row_newbcast:7 row_mask:0xf bank_mask:0xf// 000000003FFC: 105266FA FF015710
	v_add_u32_e32 v140, v38, v7                                // 000000004004: 69180F26
	v_add_u32_e32 v141, v39, v7                                // 000000004008: 691A0F27
	v_add_u32_e32 v142, v40, v7                                // 00000000400C: 691C0F28
	v_add_u32_e32 v143, v41, v7                                // 000000004010: 691E0F29
	v_add_u32_e32 v1, s56, v1                                  // 000000004014: 68020238
	s_addk_i32 s70, 0x100                                      // 000000004018: B7460100
	s_cmp_lt_i32 s70, s71                                      // 00000000401C: BF044746
	s_cbranch_scc0 label_0590                                  // 000000004020: BF84FE07
	s_waitcnt vmcnt(16) lgkmcnt(0)                             // 000000004024: BF8C4070
	v_mfma_f32_16x16x16_bf16 v[96:99], a[64:65], v[80:81], 0   // 000000004028: D3E10060 0A02A140
	buffer_load_dwordx4 a[0:3], v22, s[16:19], 0 offen         // 000000004030: E05C1000 80840016
	v_mfma_f32_16x16x16_bf16 v[96:99], a[66:67], v[82:83], v[96:99]// 000000004038: D3E10060 0D82A542
	v_mfma_f32_16x16x16_bf16 v[96:99], a[68:69], v[84:85], v[96:99]// 000000004040: D3E10060 0D82A944
	buffer_load_dword v17, v1, s[24:27], 0 offen               // 000000004048: E0501000 80061101
	v_mfma_f32_16x16x16_bf16 v[96:99], a[70:71], v[86:87], v[96:99]// 000000004050: D3E10060 0D82AD46
	v_mfma_f32_16x16x16_bf16 v[96:99], a[72:73], v[88:89], v[96:99]// 000000004058: D3E10060 0D82B148
	buffer_load_dwordx4 a[4:7], v22, s[16:19], 0 offen offset:1024// 000000004060: E05C1400 80840416
	v_mfma_f32_16x16x16_bf16 v[96:99], a[74:75], v[90:91], v[96:99]// 000000004068: D3E10060 0D82B54A
	v_mfma_f32_16x16x16_bf16 v[96:99], a[76:77], v[92:93], v[96:99]// 000000004070: D3E10060 0D82B94C
	v_mfma_f32_16x16x16_bf16 v[96:99], a[78:79], v[94:95], v[96:99]// 000000004078: D3E10060 0D82BD4E
	v_mfma_f32_16x16x16_bf16 v[100:103], a[80:81], v[80:81], 0 // 000000004080: D3E10064 0A02A150
	buffer_load_dwordx4 a[8:11], v22, s[16:19], 0 offen offset:2048// 000000004088: E05C1800 80840816
	v_mfma_f32_16x16x16_bf16 v[100:103], a[82:83], v[82:83], v[100:103]// 000000004090: D3E10064 0D92A552
	v_mfma_f32_16x16x16_bf16 v[100:103], a[84:85], v[84:85], v[100:103]// 000000004098: D3E10064 0D92A954
	v_mfma_f32_16x16x16_bf16 v[100:103], a[86:87], v[86:87], v[100:103]// 0000000040A0: D3E10064 0D92AD56
	v_mfma_f32_16x16x16_bf16 v[100:103], a[88:89], v[88:89], v[100:103]// 0000000040A8: D3E10064 0D92B158
	buffer_load_dwordx4 a[12:15], v22, s[16:19], 0 offen offset:3072// 0000000040B0: E05C1C00 80840C16
	v_mfma_f32_16x16x16_bf16 v[100:103], a[90:91], v[90:91], v[100:103]// 0000000040B8: D3E10064 0D92B55A
	v_mfma_f32_16x16x16_bf16 v[100:103], a[92:93], v[92:93], v[100:103]// 0000000040C0: D3E10064 0D92B95C
	v_mfma_f32_16x16x16_bf16 v[100:103], a[94:95], v[94:95], v[100:103]// 0000000040C8: D3E10064 0D92BD5E
	v_mfma_f32_16x16x16_bf16 v[104:107], a[96:97], v[80:81], 0 // 0000000040D0: D3E10068 0A02A160
	buffer_load_dwordx4 a[16:19], v23, s[16:19], 0 offen       // 0000000040D8: E05C1000 80841017
	v_mfma_f32_16x16x16_bf16 v[104:107], a[98:99], v[82:83], v[104:107]// 0000000040E0: D3E10068 0DA2A562
	v_mfma_f32_16x16x16_bf16 v[104:107], a[100:101], v[84:85], v[104:107]// 0000000040E8: D3E10068 0DA2A964
	v_mfma_f32_16x16x16_bf16 v[104:107], a[102:103], v[86:87], v[104:107]// 0000000040F0: D3E10068 0DA2AD66
	v_mfma_f32_16x16x16_bf16 v[104:107], a[104:105], v[88:89], v[104:107]// 0000000040F8: D3E10068 0DA2B168
	buffer_load_dwordx4 a[20:23], v23, s[16:19], 0 offen offset:1024// 000000004100: E05C1400 80841417
	v_mfma_f32_16x16x16_bf16 v[104:107], a[106:107], v[90:91], v[104:107]// 000000004108: D3E10068 0DA2B56A
	v_mfma_f32_16x16x16_bf16 v[104:107], a[108:109], v[92:93], v[104:107]// 000000004110: D3E10068 0DA2B96C
	v_mfma_f32_16x16x16_bf16 v[104:107], a[110:111], v[94:95], v[104:107]// 000000004118: D3E10068 0DA2BD6E
	v_mfma_f32_16x16x16_bf16 v[108:111], a[112:113], v[80:81], 0// 000000004120: D3E1006C 0A02A170
	buffer_load_dwordx4 a[24:27], v23, s[16:19], 0 offen offset:2048// 000000004128: E05C1800 80841817
	v_mfma_f32_16x16x16_bf16 v[108:111], a[114:115], v[82:83], v[108:111]// 000000004130: D3E1006C 0DB2A572
	v_mfma_f32_16x16x16_bf16 v[108:111], a[116:117], v[84:85], v[108:111]// 000000004138: D3E1006C 0DB2A974
	v_mfma_f32_16x16x16_bf16 v[108:111], a[118:119], v[86:87], v[108:111]// 000000004140: D3E1006C 0DB2AD76
	v_mfma_f32_16x16x16_bf16 v[108:111], a[120:121], v[88:89], v[108:111]// 000000004148: D3E1006C 0DB2B178
	buffer_load_dwordx4 a[28:31], v23, s[16:19], 0 offen offset:3072// 000000004150: E05C1C00 80841C17
	v_mfma_f32_16x16x16_bf16 v[108:111], a[122:123], v[90:91], v[108:111]// 000000004158: D3E1006C 0DB2B57A
	v_mfma_f32_16x16x16_bf16 v[108:111], a[124:125], v[92:93], v[108:111]// 000000004160: D3E1006C 0DB2B97C
	v_mfma_f32_16x16x16_bf16 v[108:111], a[126:127], v[94:95], v[108:111]// 000000004168: D3E1006C 0DB2BD7E
	buffer_load_dwordx4 a[32:35], v24, s[16:19], 0 offen       // 000000004170: E05C1000 80842018
	s_nop 8                                                    // 000000004178: BF800008
	v_or_b32_dpp v96, v104, v96 row_shr:8 row_mask:0xf bank_mask:0xf bound_ctrl:1// 00000000417C: 28C0C0FA FF091868
	v_or_b32_dpp v97, v105, v97 row_shr:8 row_mask:0xf bank_mask:0xf bound_ctrl:1// 000000004184: 28C2C2FA FF091869
	v_or_b32_dpp v98, v106, v98 row_shr:8 row_mask:0xf bank_mask:0xf bound_ctrl:1// 00000000418C: 28C4C4FA FF09186A
	v_or_b32_dpp v99, v107, v99 row_shr:8 row_mask:0xf bank_mask:0xf bound_ctrl:1// 000000004194: 28C6C6FA FF09186B
	v_or_b32_dpp v100, v108, v100 row_shr:8 row_mask:0xf bank_mask:0xf bound_ctrl:1// 00000000419C: 28C8C8FA FF09186C
	v_or_b32_dpp v101, v109, v101 row_shr:8 row_mask:0xf bank_mask:0xf bound_ctrl:1// 0000000041A4: 28CACAFA FF09186D
	v_or_b32_dpp v102, v110, v102 row_shr:8 row_mask:0xf bank_mask:0xf bound_ctrl:1// 0000000041AC: 28CCCCFA FF09186E
	v_or_b32_dpp v103, v111, v103 row_shr:8 row_mask:0xf bank_mask:0xf bound_ctrl:1// 0000000041B4: 28CECEFA FF09186F
	buffer_load_dwordx4 a[36:39], v24, s[16:19], 0 offen offset:1024// 0000000041BC: E05C1400 80842418
	v_mov_b32_e32 v48, v96                                     // 0000000041C4: 7E600360
	v_max3_f32 v48, v96, v97, v48                              // 0000000041C8: D1D30030 04C2C360
	v_max3_f32 v48, v98, v99, v48                              // 0000000041D0: D1D30030 04C2C762
	v_max3_f32 v48, v100, v101, v48                            // 0000000041D8: D1D30030 04C2CB64
	v_max3_f32 v48, v102, v103, v48                            // 0000000041E0: D1D30030 04C2CF66
	ds_write_b32 v11, v48 offset:4224                          // 0000000041E8: D81A1080 0000300B
	buffer_load_dwordx4 a[40:43], v24, s[16:19], 0 offen offset:2048// 0000000041F0: E05C1800 80842818
	s_waitcnt lgkmcnt(0)                                       // 0000000041F8: BF8CC07F
	s_barrier                                                  // 0000000041FC: BF8A0000
	ds_read_b32 v64, v10 offset:4224                           // 000000004200: D86C1080 4000000A
	buffer_load_dwordx4 a[44:47], v24, s[16:19], 0 offen offset:3072// 000000004208: E05C1C00 80842C18
	ds_read_b32 v65, v10 offset:4288                           // 000000004210: D86C10C0 4100000A
	ds_read_b32 v66, v10 offset:4352                           // 000000004218: D86C1100 4200000A
	ds_read_b32 v67, v10 offset:4416                           // 000000004220: D86C1140 4300000A
	ds_read_b32 v68, v10 offset:4480                           // 000000004228: D86C1180 4400000A
	ds_read_b32 v69, v10 offset:4544                           // 000000004230: D86C11C0 4500000A
	ds_read_b32 v70, v10 offset:4608                           // 000000004238: D86C1200 4600000A
	ds_read_b32 v71, v10 offset:4672                           // 000000004240: D86C1240 4700000A
	ds_read_b32 v72, v10 offset:4736                           // 000000004248: D86C1280 4800000A
	buffer_load_dwordx4 a[48:51], v25, s[16:19], 0 offen       // 000000004250: E05C1000 80843019
	ds_read_b32 v73, v10 offset:4800                           // 000000004258: D86C12C0 4900000A
	ds_read_b32 v74, v10 offset:4864                           // 000000004260: D86C1300 4A00000A
	ds_read_b32 v75, v10 offset:4928                           // 000000004268: D86C1340 4B00000A
	ds_read_b32 v76, v10 offset:4992                           // 000000004270: D86C1380 4C00000A
	ds_read_b32 v77, v10 offset:5056                           // 000000004278: D86C13C0 4D00000A
	ds_read_b32 v78, v10 offset:5120                           // 000000004280: D86C1400 4E00000A
	ds_read_b32 v79, v10 offset:5184                           // 000000004288: D86C1440 4F00000A
	buffer_load_dwordx4 a[52:55], v25, s[16:19], 0 offen offset:1024// 000000004290: E05C1400 80843419
	buffer_load_dwordx4 a[56:59], v25, s[16:19], 0 offen offset:2048// 000000004298: E05C1800 80843819
	s_waitcnt lgkmcnt(0)                                       // 0000000042A0: BF8CC07F
	v_max3_f32 v48, v64, v65, v48                              // 0000000042A4: D1D30030 04C28340
	v_max3_f32 v48, v66, v67, v48                              // 0000000042AC: D1D30030 04C28742
	v_max3_f32 v48, v68, v69, v48                              // 0000000042B4: D1D30030 04C28B44
	v_max3_f32 v48, v70, v71, v48                              // 0000000042BC: D1D30030 04C28F46
	v_max3_f32 v48, v72, v73, v48                              // 0000000042C4: D1D30030 04C29348
	v_max3_f32 v48, v74, v75, v48                              // 0000000042CC: D1D30030 04C2974A
	v_max3_f32 v48, v76, v77, v48                              // 0000000042D4: D1D30030 04C29B4C
	v_max3_f32 v48, v78, v79, v48                              // 0000000042DC: D1D30030 04C29F4E
	buffer_load_dwordx4 a[60:63], v25, s[16:19], 0 offen offset:3072// 0000000042E4: E05C1C00 80843C19
	v_cmp_eq_u32_e64 s[40:41], v52, v14                        // 0000000042EC: D0CA0028 00021D34
	s_nop 1                                                    // 0000000042F4: BF800001
	v_mov_b32_dpp v38, v48 row_ror:8 row_mask:0xf bank_mask:0xf// 0000000042F8: 7E4C02FA FF012830
	v_max_f32_e32 v48, v48, v38                                // 000000004300: 16604D30
	v_max_f32_e32 v15, v48, v14                                // 000000004304: 161E1D30
	v_sub_f32_e32 v49, v14, v15                                // 000000004308: 04621F0E
	v_cndmask_b32_e64 v49, v49, 0, s[40:41]                    // 00000000430C: D1000031 00A10131
	v_mov_b32_e32 v14, v15                                     // 000000004314: 7E1C030F
	v_mul_f32_e32 v50, s64, v15                                // 000000004318: 0A641E40
	v_mul_f32_e32 v49, s64, v49                                // 00000000431C: 0A626240
	v_exp_f32_e32 v49, v49                                     // 000000004320: 7E624131
	buffer_load_dwordx4 a[128:131], v136, s[20:23], 0 offen    // 000000004324: E05C1000 80858088
	v_fma_f32 v96, v96, s64, -v50                              // 00000000432C: D1CB0060 84C88160
	v_fma_f32 v97, v97, s64, -v50                              // 000000004334: D1CB0061 84C88161
	v_fma_f32 v98, v98, s64, -v50                              // 00000000433C: D1CB0062 84C88162
	v_fma_f32 v99, v99, s64, -v50                              // 000000004344: D1CB0063 84C88163
	v_fma_f32 v100, v100, s64, -v50                            // 00000000434C: D1CB0064 84C88164
	v_fma_f32 v101, v101, s64, -v50                            // 000000004354: D1CB0065 84C88165
	v_fma_f32 v102, v102, s64, -v50                            // 00000000435C: D1CB0066 84C88166
	v_fma_f32 v103, v103, s64, -v50                            // 000000004364: D1CB0067 84C88167
	v_exp_f32_e32 v96, v96                                     // 00000000436C: 7EC04160
	v_exp_f32_e32 v97, v97                                     // 000000004370: 7EC24161
	v_exp_f32_e32 v98, v98                                     // 000000004374: 7EC44162
	v_exp_f32_e32 v99, v99                                     // 000000004378: 7EC64163
	v_exp_f32_e32 v100, v100                                   // 00000000437C: 7EC84164
	v_exp_f32_e32 v101, v101                                   // 000000004380: 7ECA4165
	v_exp_f32_e32 v102, v102                                   // 000000004384: 7ECC4166
	v_exp_f32_e32 v103, v103                                   // 000000004388: 7ECE4167
	buffer_load_dwordx4 a[132:135], v137, s[20:23], 0 offen    // 00000000438C: E05C1000 80858489
	v_mul_f32_e32 v42, v49, v42                                // 000000004394: 0A545531
	v_mov_b32_e32 v43, v96                                     // 000000004398: 7E560360
	v_add_f32_e32 v43, v97, v43                                // 00000000439C: 02565761
	v_add_f32_e32 v43, v98, v43                                // 0000000043A0: 02565762
	v_add_f32_e32 v43, v99, v43                                // 0000000043A4: 02565763
	v_add_f32_e32 v43, v100, v43                               // 0000000043A8: 02565764
	v_add_f32_e32 v43, v101, v43                               // 0000000043AC: 02565765
	v_add_f32_e32 v43, v102, v43                               // 0000000043B0: 02565766
	v_add_f32_e32 v43, v103, v43                               // 0000000043B4: 02565767
	v_add_f32_e32 v42, v43, v42                                // 0000000043B8: 0254552B
	buffer_load_dwordx4 a[136:139], v138, s[20:23], 0 offen    // 0000000043BC: E05C1000 8085888A
	v_cmp_u_f32_e64 s[40:41], v96, v96                         // 0000000043C4: D0480028 0002C160
	v_add3_u32 v18, v96, v21, 1                                // 0000000043CC: D1FF0012 02062B60
	v_cndmask_b32_e64 v38, v18, v20, s[40:41]                  // 0000000043D4: D1000026 00A22912
	v_cmp_u_f32_e64 s[40:41], v97, v97                         // 0000000043DC: D0480028 0002C361
	v_add3_u32 v18, v97, v21, 1                                // 0000000043E4: D1FF0012 02062B61
	v_cndmask_b32_e64 v39, v18, v20, s[40:41]                  // 0000000043EC: D1000027 00A22912
	v_perm_b32 v96, v39, v38, s52                              // 0000000043F4: D1ED0060 00D24D27
	v_cmp_u_f32_e64 s[40:41], v98, v98                         // 0000000043FC: D0480028 0002C562
	v_add3_u32 v18, v98, v21, 1                                // 000000004404: D1FF0012 02062B62
	v_cndmask_b32_e64 v38, v18, v20, s[40:41]                  // 00000000440C: D1000026 00A22912
	v_cmp_u_f32_e64 s[40:41], v99, v99                         // 000000004414: D0480028 0002C763
	v_add3_u32 v18, v99, v21, 1                                // 00000000441C: D1FF0012 02062B63
	v_cndmask_b32_e64 v39, v18, v20, s[40:41]                  // 000000004424: D1000027 00A22912
	v_perm_b32 v97, v39, v38, s52                              // 00000000442C: D1ED0061 00D24D27
	v_cmp_u_f32_e64 s[40:41], v100, v100                       // 000000004434: D0480028 0002C964
	v_add3_u32 v18, v100, v21, 1                               // 00000000443C: D1FF0012 02062B64
	v_cndmask_b32_e64 v38, v18, v20, s[40:41]                  // 000000004444: D1000026 00A22912
	v_cmp_u_f32_e64 s[40:41], v101, v101                       // 00000000444C: D0480028 0002CB65
	v_add3_u32 v18, v101, v21, 1                               // 000000004454: D1FF0012 02062B65
	v_cndmask_b32_e64 v39, v18, v20, s[40:41]                  // 00000000445C: D1000027 00A22912
	v_perm_b32 v98, v39, v38, s52                              // 000000004464: D1ED0062 00D24D27
	v_cmp_u_f32_e64 s[40:41], v102, v102                       // 00000000446C: D0480028 0002CD66
	v_add3_u32 v18, v102, v21, 1                               // 000000004474: D1FF0012 02062B66
	v_cndmask_b32_e64 v38, v18, v20, s[40:41]                  // 00000000447C: D1000026 00A22912
	v_cmp_u_f32_e64 s[40:41], v103, v103                       // 000000004484: D0480028 0002CF67
	v_add3_u32 v18, v103, v21, 1                               // 00000000448C: D1FF0012 02062B67
	v_cndmask_b32_e64 v39, v18, v20, s[40:41]                  // 000000004494: D1000027 00A22912
	v_perm_b32 v99, v39, v38, s52                              // 00000000449C: D1ED0063 00D24D27
	buffer_load_dwordx4 a[140:143], v139, s[20:23], 0 offen    // 0000000044A4: E05C1000 80858C8B
	buffer_load_dwordx4 a[144:147], v140, s[20:23], 0 offen    // 0000000044AC: E05C1000 8085908C
	ds_write_b64 v13, v[96:97] offset:5248                     // 0000000044B4: D89A1480 0000600D
	ds_write_b64 v13, v[98:99] offset:7296                     // 0000000044BC: D89A1C80 0000620D
	buffer_load_dwordx4 a[148:151], v141, s[20:23], 0 offen    // 0000000044C4: E05C1000 8085948D
	s_waitcnt lgkmcnt(0)                                       // 0000000044CC: BF8CC07F
	s_barrier                                                  // 0000000044D0: BF8A0000
	ds_read_b64 v[96:97], v12 offset:5248                      // 0000000044D4: D8EC1480 6000000C
	ds_read_b64 v[98:99], v12 offset:5376                      // 0000000044DC: D8EC1500 6200000C
	ds_read_b64 v[100:101], v12 offset:6272                    // 0000000044E4: D8EC1880 6400000C
	ds_read_b64 v[102:103], v12 offset:6400                    // 0000000044EC: D8EC1900 6600000C
	ds_read_b64 v[104:105], v12 offset:7296                    // 0000000044F4: D8EC1C80 6800000C
	ds_read_b64 v[106:107], v12 offset:7424                    // 0000000044FC: D8EC1D00 6A00000C
	ds_read_b64 v[108:109], v12 offset:8320                    // 000000004504: D8EC2080 6C00000C
	ds_read_b64 v[110:111], v12 offset:8448                    // 00000000450C: D8EC2100 6E00000C
	buffer_load_dwordx4 a[152:155], v142, s[20:23], 0 offen    // 000000004514: E05C1000 8085988E
	s_waitcnt lgkmcnt(0)                                       // 00000000451C: BF8CC07F
	v_mov_b32_dpp v112, v96 row_shl:8 row_mask:0xf bank_mask:0xf bound_ctrl:1// 000000004520: 7EE002FA FF090860
	v_and_b32_e32 v96, v96, v9                                 // 000000004528: 26C01360
	v_mov_b32_dpp v113, v97 row_shl:8 row_mask:0xf bank_mask:0xf bound_ctrl:1// 00000000452C: 7EE202FA FF090861
	v_and_b32_e32 v97, v97, v9                                 // 000000004534: 26C21361
	v_mov_b32_dpp v114, v98 row_shl:8 row_mask:0xf bank_mask:0xf bound_ctrl:1// 000000004538: 7EE402FA FF090862
	v_and_b32_e32 v98, v98, v9                                 // 000000004540: 26C41362
	v_mov_b32_dpp v115, v99 row_shl:8 row_mask:0xf bank_mask:0xf bound_ctrl:1// 000000004544: 7EE602FA FF090863
	v_and_b32_e32 v99, v99, v9                                 // 00000000454C: 26C61363
	v_mov_b32_dpp v116, v100 row_shl:8 row_mask:0xf bank_mask:0xf bound_ctrl:1// 000000004550: 7EE802FA FF090864
	v_and_b32_e32 v100, v100, v9                               // 000000004558: 26C81364
	v_mov_b32_dpp v117, v101 row_shl:8 row_mask:0xf bank_mask:0xf bound_ctrl:1// 00000000455C: 7EEA02FA FF090865
	v_and_b32_e32 v101, v101, v9                               // 000000004564: 26CA1365
	v_mov_b32_dpp v118, v102 row_shl:8 row_mask:0xf bank_mask:0xf bound_ctrl:1// 000000004568: 7EEC02FA FF090866
	v_and_b32_e32 v102, v102, v9                               // 000000004570: 26CC1366
	v_mov_b32_dpp v119, v103 row_shl:8 row_mask:0xf bank_mask:0xf bound_ctrl:1// 000000004574: 7EEE02FA FF090867
	v_and_b32_e32 v103, v103, v9                               // 00000000457C: 26CE1367
	v_mov_b32_dpp v120, v104 row_shl:8 row_mask:0xf bank_mask:0xf bound_ctrl:1// 000000004580: 7EF002FA FF090868
	v_and_b32_e32 v104, v104, v9                               // 000000004588: 26D01368
	v_mov_b32_dpp v121, v105 row_shl:8 row_mask:0xf bank_mask:0xf bound_ctrl:1// 00000000458C: 7EF202FA FF090869
	v_and_b32_e32 v105, v105, v9                               // 000000004594: 26D21369
	v_mov_b32_dpp v122, v106 row_shl:8 row_mask:0xf bank_mask:0xf bound_ctrl:1// 000000004598: 7EF402FA FF09086A
	v_and_b32_e32 v106, v106, v9                               // 0000000045A0: 26D4136A
	v_mov_b32_dpp v123, v107 row_shl:8 row_mask:0xf bank_mask:0xf bound_ctrl:1// 0000000045A4: 7EF602FA FF09086B
	v_and_b32_e32 v107, v107, v9                               // 0000000045AC: 26D6136B
	v_mov_b32_dpp v124, v108 row_shl:8 row_mask:0xf bank_mask:0xf bound_ctrl:1// 0000000045B0: 7EF802FA FF09086C
	v_and_b32_e32 v108, v108, v9                               // 0000000045B8: 26D8136C
	v_mov_b32_dpp v125, v109 row_shl:8 row_mask:0xf bank_mask:0xf bound_ctrl:1// 0000000045BC: 7EFA02FA FF09086D
	v_and_b32_e32 v109, v109, v9                               // 0000000045C4: 26DA136D
	v_mov_b32_dpp v126, v110 row_shl:8 row_mask:0xf bank_mask:0xf bound_ctrl:1// 0000000045C8: 7EFC02FA FF09086E
	v_and_b32_e32 v110, v110, v9                               // 0000000045D0: 26DC136E
	v_mov_b32_dpp v127, v111 row_shl:8 row_mask:0xf bank_mask:0xf bound_ctrl:1// 0000000045D4: 7EFE02FA FF09086F
	v_and_b32_e32 v111, v111, v9                               // 0000000045DC: 26DE136F
	buffer_load_dwordx4 a[156:159], v143, s[20:23], 0 offen    // 0000000045E0: E05C1000 80859C8F
	v_mul_f32_e32 v128, v49, v128                              // 0000000045E8: 0B010131
	v_mul_f32_e32 v129, v49, v129                              // 0000000045EC: 0B030331
	v_mul_f32_e32 v130, v49, v130                              // 0000000045F0: 0B050531
	v_mul_f32_e32 v131, v49, v131                              // 0000000045F4: 0B070731
	v_mul_f32_e32 v132, v49, v132                              // 0000000045F8: 0B090931
	v_mul_f32_e32 v133, v49, v133                              // 0000000045FC: 0B0B0B31
	v_mul_f32_e32 v134, v49, v134                              // 000000004600: 0B0D0D31
	v_mul_f32_e32 v135, v49, v135                              // 000000004604: 0B0F0F31
	s_waitcnt vmcnt(24)                                        // 000000004608: BF8C4F78
	v_mfma_f32_16x16x16_bf16 v[128:131], a[192:193], v[96:97], v[128:131]// 00000000460C: D3E10080 0E02C1C0
	buffer_load_dwordx4 a[160:163], v136, s[20:23], 0 offen offset:1024// 000000004614: E05C1400 8085A088
	v_mfma_f32_16x16x16_bf16 v[128:131], a[194:195], v[98:99], v[128:131]// 00000000461C: D3E10080 0E02C5C2
	v_mfma_f32_16x16x16_bf16 v[128:131], a[196:197], v[100:101], v[128:131]// 000000004624: D3E10080 0E02C9C4
	v_mfma_f32_16x16x16_bf16 v[128:131], a[198:199], v[102:103], v[128:131]// 00000000462C: D3E10080 0E02CDC6
	v_mfma_f32_16x16x16_bf16 v[128:131], a[200:201], v[104:105], v[128:131]// 000000004634: D3E10080 0E02D1C8
	buffer_load_dwordx4 a[164:167], v137, s[20:23], 0 offen offset:1024// 00000000463C: E05C1400 8085A489
	v_mfma_f32_16x16x16_bf16 v[128:131], a[202:203], v[106:107], v[128:131]// 000000004644: D3E10080 0E02D5CA
	v_mfma_f32_16x16x16_bf16 v[128:131], a[204:205], v[108:109], v[128:131]// 00000000464C: D3E10080 0E02D9CC
	v_mfma_f32_16x16x16_bf16 v[128:131], a[206:207], v[110:111], v[128:131]// 000000004654: D3E10080 0E02DDCE
	v_mfma_f32_16x16x16_bf16 v[128:131], a[208:209], v[112:113], v[128:131]// 00000000465C: D3E10080 0E02E1D0
	buffer_load_dwordx4 a[168:171], v138, s[20:23], 0 offen offset:1024// 000000004664: E05C1400 8085A88A
	v_mfma_f32_16x16x16_bf16 v[128:131], a[210:211], v[114:115], v[128:131]// 00000000466C: D3E10080 0E02E5D2
	v_mfma_f32_16x16x16_bf16 v[128:131], a[212:213], v[116:117], v[128:131]// 000000004674: D3E10080 0E02E9D4
	v_mfma_f32_16x16x16_bf16 v[128:131], a[214:215], v[118:119], v[128:131]// 00000000467C: D3E10080 0E02EDD6
	v_mfma_f32_16x16x16_bf16 v[128:131], a[216:217], v[120:121], v[128:131]// 000000004684: D3E10080 0E02F1D8
	buffer_load_dwordx4 a[172:175], v139, s[20:23], 0 offen offset:1024// 00000000468C: E05C1400 8085AC8B
	v_mfma_f32_16x16x16_bf16 v[128:131], a[218:219], v[122:123], v[128:131]// 000000004694: D3E10080 0E02F5DA
	v_mfma_f32_16x16x16_bf16 v[128:131], a[220:221], v[124:125], v[128:131]// 00000000469C: D3E10080 0E02F9DC
	v_mfma_f32_16x16x16_bf16 v[128:131], a[222:223], v[126:127], v[128:131]// 0000000046A4: D3E10080 0E02FDDE
	v_mfma_f32_16x16x16_bf16 v[132:135], a[224:225], v[96:97], v[132:135]// 0000000046AC: D3E10084 0E12C1E0
	buffer_load_dwordx4 a[176:179], v140, s[20:23], 0 offen offset:1024// 0000000046B4: E05C1400 8085B08C
	v_mfma_f32_16x16x16_bf16 v[132:135], a[226:227], v[98:99], v[132:135]// 0000000046BC: D3E10084 0E12C5E2
	v_mfma_f32_16x16x16_bf16 v[132:135], a[228:229], v[100:101], v[132:135]// 0000000046C4: D3E10084 0E12C9E4
	v_mfma_f32_16x16x16_bf16 v[132:135], a[230:231], v[102:103], v[132:135]// 0000000046CC: D3E10084 0E12CDE6
	v_mfma_f32_16x16x16_bf16 v[132:135], a[232:233], v[104:105], v[132:135]// 0000000046D4: D3E10084 0E12D1E8
	buffer_load_dwordx4 a[180:183], v141, s[20:23], 0 offen offset:1024// 0000000046DC: E05C1400 8085B48D
	v_mfma_f32_16x16x16_bf16 v[132:135], a[234:235], v[106:107], v[132:135]// 0000000046E4: D3E10084 0E12D5EA
	v_mfma_f32_16x16x16_bf16 v[132:135], a[236:237], v[108:109], v[132:135]// 0000000046EC: D3E10084 0E12D9EC
	v_mfma_f32_16x16x16_bf16 v[132:135], a[238:239], v[110:111], v[132:135]// 0000000046F4: D3E10084 0E12DDEE
	v_mfma_f32_16x16x16_bf16 v[132:135], a[240:241], v[112:113], v[132:135]// 0000000046FC: D3E10084 0E12E1F0
	buffer_load_dwordx4 a[184:187], v142, s[20:23], 0 offen offset:1024// 000000004704: E05C1400 8085B88E
	v_mfma_f32_16x16x16_bf16 v[132:135], a[242:243], v[114:115], v[132:135]// 00000000470C: D3E10084 0E12E5F2
	v_mfma_f32_16x16x16_bf16 v[132:135], a[244:245], v[116:117], v[132:135]// 000000004714: D3E10084 0E12E9F4
	v_mfma_f32_16x16x16_bf16 v[132:135], a[246:247], v[118:119], v[132:135]// 00000000471C: D3E10084 0E12EDF6
	v_mfma_f32_16x16x16_bf16 v[132:135], a[248:249], v[120:121], v[132:135]// 000000004724: D3E10084 0E12F1F8
	buffer_load_dwordx4 a[188:191], v143, s[20:23], 0 offen offset:1024// 00000000472C: E05C1400 8085BC8F
	v_mfma_f32_16x16x16_bf16 v[132:135], a[250:251], v[122:123], v[132:135]// 000000004734: D3E10084 0E12F5FA
	v_mfma_f32_16x16x16_bf16 v[132:135], a[252:253], v[124:125], v[132:135]// 00000000473C: D3E10084 0E12F9FC
	v_mfma_f32_16x16x16_bf16 v[132:135], a[254:255], v[126:127], v[132:135]// 000000004744: D3E10084 0E12FDFE
	s_lshr_b32 s60, s70, 4                                     // 00000000474C: 8F3C8446
	s_add_u32 s60, 48, s60                                     // 000000004750: 803C3CB0
	s_cmp_ge_u32 s60, s73                                      // 000000004754: BF09493C
	s_cselect_b32 s56, 0, s56                                  // 000000004758: 85383880
	v_mul_u32_u24_dpp v38, v17, v51 row_newbcast:0 row_mask:0xf bank_mask:0xf// 00000000475C: 104C66FA FF015011
	v_mul_u32_u24_dpp v39, v17, v51 row_newbcast:4 row_mask:0xf bank_mask:0xf// 000000004764: 104E66FA FF015411
	v_mul_u32_u24_dpp v40, v17, v51 row_newbcast:8 row_mask:0xf bank_mask:0xf// 00000000476C: 105066FA FF015811
	v_mul_u32_u24_dpp v41, v17, v51 row_newbcast:12 row_mask:0xf bank_mask:0xf// 000000004774: 105266FA FF015C11
	v_add_u32_e32 v26, v38, v6                                 // 00000000477C: 68340D26
	v_add_u32_e32 v27, v39, v6                                 // 000000004780: 68360D27
	v_add_u32_e32 v28, v40, v6                                 // 000000004784: 68380D28
	v_add_u32_e32 v29, v41, v6                                 // 000000004788: 683A0D29
	v_mul_u32_u24_dpp v38, v17, v51 row_newbcast:1 row_mask:0xf bank_mask:0xf// 00000000478C: 104C66FA FF015111
	v_mul_u32_u24_dpp v39, v17, v51 row_newbcast:2 row_mask:0xf bank_mask:0xf// 000000004794: 104E66FA FF015211
	v_mul_u32_u24_dpp v40, v17, v51 row_newbcast:5 row_mask:0xf bank_mask:0xf// 00000000479C: 105066FA FF015511
	v_mul_u32_u24_dpp v41, v17, v51 row_newbcast:6 row_mask:0xf bank_mask:0xf// 0000000047A4: 105266FA FF015611
	v_add_u32_e32 v144, v38, v7                                // 0000000047AC: 69200F26
	v_add_u32_e32 v145, v39, v7                                // 0000000047B0: 69220F27
	v_add_u32_e32 v146, v40, v7                                // 0000000047B4: 69240F28
	v_add_u32_e32 v147, v41, v7                                // 0000000047B8: 69260F29
	v_mul_u32_u24_dpp v38, v17, v51 row_newbcast:9 row_mask:0xf bank_mask:0xf// 0000000047BC: 104C66FA FF015911
	v_mul_u32_u24_dpp v39, v17, v51 row_newbcast:10 row_mask:0xf bank_mask:0xf// 0000000047C4: 104E66FA FF015A11
	v_mul_u32_u24_dpp v40, v17, v51 row_newbcast:13 row_mask:0xf bank_mask:0xf// 0000000047CC: 105066FA FF015D11
	v_mul_u32_u24_dpp v41, v17, v51 row_newbcast:7 row_mask:0xf bank_mask:0xf// 0000000047D4: 105266FA FF015711
	v_add_u32_e32 v148, v38, v7                                // 0000000047DC: 69280F26
	v_add_u32_e32 v149, v39, v7                                // 0000000047E0: 692A0F27
	v_add_u32_e32 v150, v40, v7                                // 0000000047E4: 692C0F28
	v_add_u32_e32 v151, v41, v7                                // 0000000047E8: 692E0F29
	v_add_u32_e32 v1, s56, v1                                  // 0000000047EC: 68020238
	s_addk_i32 s70, 0x100                                      // 0000000047F0: B7460100
	s_cmp_lt_i32 s70, s71                                      // 0000000047F4: BF044746
	s_cbranch_scc0 label_0590                                  // 0000000047F8: BF84FC11
	s_branch label_0593                                        // 0000000047FC: BF82FC13

0000000000004800 <label_0980>:
	s_lshr_b32 s60, s71, 4                                     // 000000004800: 8F3C8447
	s_cmp_eq_i32 s60, s73                                      // 000000004804: BF00493C
	s_cbranch_scc1 label_0F0A                                  // 000000004808: BF850586
	s_and_b32 s60, s72, 0xff                                   // 00000000480C: 863CFF48 000000FF
	s_cmp_le_i32 s60, 64                                       // 000000004814: BF05C03C
	s_cbranch_scc0 label_0B16                                  // 000000004818: BF84018E
	s_lshr_b32 s60, s71, 8                                     // 00000000481C: 8F3C8847
	s_and_b32 s60, s60, 1                                      // 000000004820: 863C813C
	s_cmp_eq_i32 s60, 1                                        // 000000004824: BF00813C
	s_cbranch_scc1 label_0A50                                  // 000000004828: BF8500C5
	s_waitcnt vmcnt(16) lgkmcnt(0)                             // 00000000482C: BF8C4070
	v_mfma_f32_16x16x16_bf16 v[96:99], a[0:1], v[80:81], 0     // 000000004830: D3E10060 0A02A100
	v_mfma_f32_16x16x16_bf16 v[96:99], a[2:3], v[82:83], v[96:99]// 000000004838: D3E10060 0D82A502
	v_mfma_f32_16x16x16_bf16 v[96:99], a[4:5], v[84:85], v[96:99]// 000000004840: D3E10060 0D82A904
	v_mfma_f32_16x16x16_bf16 v[96:99], a[6:7], v[86:87], v[96:99]// 000000004848: D3E10060 0D82AD06
	v_mfma_f32_16x16x16_bf16 v[96:99], a[8:9], v[88:89], v[96:99]// 000000004850: D3E10060 0D82B108
	v_mfma_f32_16x16x16_bf16 v[96:99], a[10:11], v[90:91], v[96:99]// 000000004858: D3E10060 0D82B50A
	v_mfma_f32_16x16x16_bf16 v[96:99], a[12:13], v[92:93], v[96:99]// 000000004860: D3E10060 0D82B90C
	v_mfma_f32_16x16x16_bf16 v[96:99], a[14:15], v[94:95], v[96:99]// 000000004868: D3E10060 0D82BD0E
	s_and_b32 s60, s72, 0xff                                   // 000000004870: 863CFF48 000000FF
	v_mov_b32_e32 v53, s60                                     // 000000004878: 7E6A023C
	v_lshrrev_b32_e32 v30, 4, v0                               // 00000000487C: 203C0084
	v_mul_i32_i24_e32 v30, 4, v30                              // 000000004880: 0C3C3C84
	s_mul_i32 s60, s7, 16                                      // 000000004884: 923C9007
	v_add_u32_e32 v30, s60, v30                                // 000000004888: 683C3C3C
	v_add_u32_e32 v31, 1, v30                                  // 00000000488C: 683E3C81
	v_add_u32_e32 v32, 2, v30                                  // 000000004890: 68403C82
	v_add_u32_e32 v33, 3, v30                                  // 000000004894: 68423C83
	v_and_b32_e32 v38, v52, v9                                 // 000000004898: 264C1334
	v_cmp_lt_u32_e64 s[40:41], v30, v53                        // 00000000489C: D0C90028 00026B1E
	v_add_u32_e32 v30, 64, v30                                 // 0000000048A4: 683C3CC0
	s_nop 0                                                    // 0000000048A8: BF800000
	v_cndmask_b32_e64 v96, v38, v96, s[40:41]                  // 0000000048AC: D1000060 00A2C126
	v_cmp_lt_u32_e64 s[40:41], v31, v53                        // 0000000048B4: D0C90028 00026B1F
	v_add_u32_e32 v31, 64, v31                                 // 0000000048BC: 683E3EC0
	s_nop 0                                                    // 0000000048C0: BF800000
	v_cndmask_b32_e64 v97, v38, v97, s[40:41]                  // 0000000048C4: D1000061 00A2C326
	v_cmp_lt_u32_e64 s[40:41], v32, v53                        // 0000000048CC: D0C90028 00026B20
	v_add_u32_e32 v32, 64, v32                                 // 0000000048D4: 684040C0
	s_nop 0                                                    // 0000000048D8: BF800000
	v_cndmask_b32_e64 v98, v38, v98, s[40:41]                  // 0000000048DC: D1000062 00A2C526
	v_cmp_lt_u32_e64 s[40:41], v33, v53                        // 0000000048E4: D0C90028 00026B21
	v_add_u32_e32 v33, 64, v33                                 // 0000000048EC: 684242C0
	s_nop 0                                                    // 0000000048F0: BF800000
	v_cndmask_b32_e64 v99, v38, v99, s[40:41]                  // 0000000048F4: D1000063 00A2C726
	s_nop 1                                                    // 0000000048FC: BF800001
	v_or_b32_dpp v96, v98, v96 row_shr:8 row_mask:0xf bank_mask:0xf bound_ctrl:1// 000000004900: 28C0C0FA FF091862
	v_or_b32_dpp v97, v99, v97 row_shr:8 row_mask:0xf bank_mask:0xf bound_ctrl:1// 000000004908: 28C2C2FA FF091863
	v_max_f32_e32 v48, v96, v97                                // 000000004910: 1660C360
	ds_write_b32 v11, v48 offset:4224                          // 000000004914: D81A1080 0000300B
	s_waitcnt lgkmcnt(0)                                       // 00000000491C: BF8CC07F
	s_barrier                                                  // 000000004920: BF8A0000
	ds_read_b32 v64, v10 offset:4224                           // 000000004924: D86C1080 4000000A
	ds_read_b32 v65, v10 offset:4288                           // 00000000492C: D86C10C0 4100000A
	ds_read_b32 v66, v10 offset:4352                           // 000000004934: D86C1100 4200000A
	ds_read_b32 v67, v10 offset:4416                           // 00000000493C: D86C1140 4300000A
	ds_read_b32 v68, v10 offset:4480                           // 000000004944: D86C1180 4400000A
	ds_read_b32 v69, v10 offset:4544                           // 00000000494C: D86C11C0 4500000A
	ds_read_b32 v70, v10 offset:4608                           // 000000004954: D86C1200 4600000A
	ds_read_b32 v71, v10 offset:4672                           // 00000000495C: D86C1240 4700000A
	ds_read_b32 v72, v10 offset:4736                           // 000000004964: D86C1280 4800000A
	ds_read_b32 v73, v10 offset:4800                           // 00000000496C: D86C12C0 4900000A
	ds_read_b32 v74, v10 offset:4864                           // 000000004974: D86C1300 4A00000A
	ds_read_b32 v75, v10 offset:4928                           // 00000000497C: D86C1340 4B00000A
	ds_read_b32 v76, v10 offset:4992                           // 000000004984: D86C1380 4C00000A
	ds_read_b32 v77, v10 offset:5056                           // 00000000498C: D86C13C0 4D00000A
	ds_read_b32 v78, v10 offset:5120                           // 000000004994: D86C1400 4E00000A
	ds_read_b32 v79, v10 offset:5184                           // 00000000499C: D86C1440 4F00000A
	s_waitcnt lgkmcnt(0)                                       // 0000000049A4: BF8CC07F
	v_max3_f32 v48, v64, v65, v48                              // 0000000049A8: D1D30030 04C28340
	v_max3_f32 v48, v66, v67, v48                              // 0000000049B0: D1D30030 04C28742
	v_max3_f32 v48, v68, v69, v48                              // 0000000049B8: D1D30030 04C28B44
	v_max3_f32 v48, v70, v71, v48                              // 0000000049C0: D1D30030 04C28F46
	v_max3_f32 v48, v72, v73, v48                              // 0000000049C8: D1D30030 04C29348
	v_max3_f32 v48, v74, v75, v48                              // 0000000049D0: D1D30030 04C2974A
	v_max3_f32 v48, v76, v77, v48                              // 0000000049D8: D1D30030 04C29B4C
	v_max3_f32 v48, v78, v79, v48                              // 0000000049E0: D1D30030 04C29F4E
	s_nop 1                                                    // 0000000049E8: BF800001
	v_mov_b32_dpp v38, v48 row_ror:8 row_mask:0xf bank_mask:0xf// 0000000049EC: 7E4C02FA FF012830
	v_max_f32_e32 v48, v48, v38                                // 0000000049F4: 16604D30
	v_max_f32_e32 v15, v48, v14                                // 0000000049F8: 161E1D30
	v_sub_f32_e32 v49, v14, v15                                // 0000000049FC: 04621F0E
	v_mov_b32_e32 v14, v15                                     // 000000004A00: 7E1C030F
	v_mul_f32_e32 v50, s64, v15                                // 000000004A04: 0A641E40
	v_mul_f32_e32 v49, s64, v49                                // 000000004A08: 0A626240
	v_exp_f32_e32 v49, v49                                     // 000000004A0C: 7E624131
	v_fma_f32 v96, v96, s64, -v50                              // 000000004A10: D1CB0060 84C88160
	v_fma_f32 v97, v97, s64, -v50                              // 000000004A18: D1CB0061 84C88161
	v_exp_f32_e32 v96, v96                                     // 000000004A20: 7EC04160
	v_exp_f32_e32 v97, v97                                     // 000000004A24: 7EC24161
	v_mul_f32_e32 v42, v49, v42                                // 000000004A28: 0A545531
	v_mov_b32_e32 v43, v96                                     // 000000004A2C: 7E560360
	v_add_f32_e32 v43, v97, v43                                // 000000004A30: 02565761
	v_add_f32_e32 v42, v43, v42                                // 000000004A34: 0254552B
	v_cmp_u_f32_e64 s[40:41], v96, v96                         // 000000004A38: D0480028 0002C160
	v_add3_u32 v18, v96, v21, 1                                // 000000004A40: D1FF0012 02062B60
	v_cndmask_b32_e64 v38, v18, v20, s[40:41]                  // 000000004A48: D1000026 00A22912
	v_cmp_u_f32_e64 s[40:41], v97, v97                         // 000000004A50: D0480028 0002C361
	v_add3_u32 v18, v97, v21, 1                                // 000000004A58: D1FF0012 02062B61
	v_cndmask_b32_e64 v39, v18, v20, s[40:41]                  // 000000004A60: D1000027 00A22912
	v_perm_b32 v96, v39, v38, s52                              // 000000004A68: D1ED0060 00D24D27
	ds_write_b64 v13, v[96:97] offset:5248                     // 000000004A70: D89A1480 0000600D
	s_waitcnt lgkmcnt(0)                                       // 000000004A78: BF8CC07F
	s_barrier                                                  // 000000004A7C: BF8A0000
	ds_read_b64 v[96:97], v12 offset:5248                      // 000000004A80: D8EC1480 6000000C
	ds_read_b64 v[98:99], v12 offset:5376                      // 000000004A88: D8EC1500 6200000C
	ds_read_b64 v[100:101], v12 offset:6272                    // 000000004A90: D8EC1880 6400000C
	ds_read_b64 v[102:103], v12 offset:6400                    // 000000004A98: D8EC1900 6600000C
	s_waitcnt lgkmcnt(0)                                       // 000000004AA0: BF8CC07F
	v_mov_b32_dpp v97, v96 row_shl:8 row_mask:0xf bank_mask:0xf bound_ctrl:1// 000000004AA4: 7EC202FA FF090860
	v_and_b32_e32 v96, v96, v9                                 // 000000004AAC: 26C01360
	v_mov_b32_dpp v99, v98 row_shl:8 row_mask:0xf bank_mask:0xf bound_ctrl:1// 000000004AB0: 7EC602FA FF090862
	v_and_b32_e32 v98, v98, v9                                 // 000000004AB8: 26C41362
	v_mov_b32_dpp v101, v100 row_shl:8 row_mask:0xf bank_mask:0xf bound_ctrl:1// 000000004ABC: 7ECA02FA FF090864
	v_and_b32_e32 v100, v100, v9                               // 000000004AC4: 26C81364
	v_mov_b32_dpp v103, v102 row_shl:8 row_mask:0xf bank_mask:0xf bound_ctrl:1// 000000004AC8: 7ECE02FA FF090866
	v_and_b32_e32 v102, v102, v9                               // 000000004AD0: 26CC1366
	v_mul_f32_e32 v128, v49, v128                              // 000000004AD4: 0B010131
	v_mul_f32_e32 v129, v49, v129                              // 000000004AD8: 0B030331
	v_mul_f32_e32 v130, v49, v130                              // 000000004ADC: 0B050531
	v_mul_f32_e32 v131, v49, v131                              // 000000004AE0: 0B070731
	v_mul_f32_e32 v132, v49, v132                              // 000000004AE4: 0B090931
	v_mul_f32_e32 v133, v49, v133                              // 000000004AE8: 0B0B0B31
	v_mul_f32_e32 v134, v49, v134                              // 000000004AEC: 0B0D0D31
	v_mul_f32_e32 v135, v49, v135                              // 000000004AF0: 0B0F0F31
	s_waitcnt vmcnt(0)                                         // 000000004AF4: BF8C0F70
	v_mfma_f32_16x16x16_bf16 v[128:131], a[128:129], v[96:97], v[128:131]// 000000004AF8: D3E10080 0E02C180
	v_mfma_f32_16x16x16_bf16 v[128:131], a[130:131], v[98:99], v[128:131]// 000000004B00: D3E10080 0E02C582
	v_mfma_f32_16x16x16_bf16 v[128:131], a[132:133], v[100:101], v[128:131]// 000000004B08: D3E10080 0E02C984
	v_mfma_f32_16x16x16_bf16 v[128:131], a[134:135], v[102:103], v[128:131]// 000000004B10: D3E10080 0E02CD86
	v_mfma_f32_16x16x16_bf16 v[132:135], a[160:161], v[96:97], v[132:135]// 000000004B18: D3E10084 0E12C1A0
	v_mfma_f32_16x16x16_bf16 v[132:135], a[162:163], v[98:99], v[132:135]// 000000004B20: D3E10084 0E12C5A2
	v_mfma_f32_16x16x16_bf16 v[132:135], a[164:165], v[100:101], v[132:135]// 000000004B28: D3E10084 0E12C9A4
	v_mfma_f32_16x16x16_bf16 v[132:135], a[166:167], v[102:103], v[132:135]// 000000004B30: D3E10084 0E12CDA6
	s_nop 8                                                    // 000000004B38: BF800008
	s_branch label_0F0A                                        // 000000004B3C: BF8204B9

0000000000004b40 <label_0A50>:
	s_waitcnt vmcnt(16) lgkmcnt(0)                             // 000000004B40: BF8C4070
	v_mfma_f32_16x16x16_bf16 v[96:99], a[64:65], v[80:81], 0   // 000000004B44: D3E10060 0A02A140
	v_mfma_f32_16x16x16_bf16 v[96:99], a[66:67], v[82:83], v[96:99]// 000000004B4C: D3E10060 0D82A542
	v_mfma_f32_16x16x16_bf16 v[96:99], a[68:69], v[84:85], v[96:99]// 000000004B54: D3E10060 0D82A944
	v_mfma_f32_16x16x16_bf16 v[96:99], a[70:71], v[86:87], v[96:99]// 000000004B5C: D3E10060 0D82AD46
	v_mfma_f32_16x16x16_bf16 v[96:99], a[72:73], v[88:89], v[96:99]// 000000004B64: D3E10060 0D82B148
	v_mfma_f32_16x16x16_bf16 v[96:99], a[74:75], v[90:91], v[96:99]// 000000004B6C: D3E10060 0D82B54A
	v_mfma_f32_16x16x16_bf16 v[96:99], a[76:77], v[92:93], v[96:99]// 000000004B74: D3E10060 0D82B94C
	v_mfma_f32_16x16x16_bf16 v[96:99], a[78:79], v[94:95], v[96:99]// 000000004B7C: D3E10060 0D82BD4E
	s_and_b32 s60, s72, 0xff                                   // 000000004B84: 863CFF48 000000FF
	v_mov_b32_e32 v53, s60                                     // 000000004B8C: 7E6A023C
	v_lshrrev_b32_e32 v30, 4, v0                               // 000000004B90: 203C0084
	v_mul_i32_i24_e32 v30, 4, v30                              // 000000004B94: 0C3C3C84
	s_mul_i32 s60, s7, 16                                      // 000000004B98: 923C9007
	v_add_u32_e32 v30, s60, v30                                // 000000004B9C: 683C3C3C
	v_add_u32_e32 v31, 1, v30                                  // 000000004BA0: 683E3C81
	v_add_u32_e32 v32, 2, v30                                  // 000000004BA4: 68403C82
	v_add_u32_e32 v33, 3, v30                                  // 000000004BA8: 68423C83
	v_and_b32_e32 v38, v52, v9                                 // 000000004BAC: 264C1334
	v_cmp_lt_u32_e64 s[40:41], v30, v53                        // 000000004BB0: D0C90028 00026B1E
	v_add_u32_e32 v30, 64, v30                                 // 000000004BB8: 683C3CC0
	s_nop 0                                                    // 000000004BBC: BF800000
	v_cndmask_b32_e64 v96, v38, v96, s[40:41]                  // 000000004BC0: D1000060 00A2C126
	v_cmp_lt_u32_e64 s[40:41], v31, v53                        // 000000004BC8: D0C90028 00026B1F
	v_add_u32_e32 v31, 64, v31                                 // 000000004BD0: 683E3EC0
	s_nop 0                                                    // 000000004BD4: BF800000
	v_cndmask_b32_e64 v97, v38, v97, s[40:41]                  // 000000004BD8: D1000061 00A2C326
	v_cmp_lt_u32_e64 s[40:41], v32, v53                        // 000000004BE0: D0C90028 00026B20
	v_add_u32_e32 v32, 64, v32                                 // 000000004BE8: 684040C0
	s_nop 0                                                    // 000000004BEC: BF800000
	v_cndmask_b32_e64 v98, v38, v98, s[40:41]                  // 000000004BF0: D1000062 00A2C526
	v_cmp_lt_u32_e64 s[40:41], v33, v53                        // 000000004BF8: D0C90028 00026B21
	v_add_u32_e32 v33, 64, v33                                 // 000000004C00: 684242C0
	s_nop 0                                                    // 000000004C04: BF800000
	v_cndmask_b32_e64 v99, v38, v99, s[40:41]                  // 000000004C08: D1000063 00A2C726
	s_nop 1                                                    // 000000004C10: BF800001
	v_or_b32_dpp v96, v98, v96 row_shr:8 row_mask:0xf bank_mask:0xf bound_ctrl:1// 000000004C14: 28C0C0FA FF091862
	v_or_b32_dpp v97, v99, v97 row_shr:8 row_mask:0xf bank_mask:0xf bound_ctrl:1// 000000004C1C: 28C2C2FA FF091863
	v_max_f32_e32 v48, v96, v97                                // 000000004C24: 1660C360
	ds_write_b32 v11, v48 offset:4224                          // 000000004C28: D81A1080 0000300B
	s_waitcnt lgkmcnt(0)                                       // 000000004C30: BF8CC07F
	s_barrier                                                  // 000000004C34: BF8A0000
	ds_read_b32 v64, v10 offset:4224                           // 000000004C38: D86C1080 4000000A
	ds_read_b32 v65, v10 offset:4288                           // 000000004C40: D86C10C0 4100000A
	ds_read_b32 v66, v10 offset:4352                           // 000000004C48: D86C1100 4200000A
	ds_read_b32 v67, v10 offset:4416                           // 000000004C50: D86C1140 4300000A
	ds_read_b32 v68, v10 offset:4480                           // 000000004C58: D86C1180 4400000A
	ds_read_b32 v69, v10 offset:4544                           // 000000004C60: D86C11C0 4500000A
	ds_read_b32 v70, v10 offset:4608                           // 000000004C68: D86C1200 4600000A
	ds_read_b32 v71, v10 offset:4672                           // 000000004C70: D86C1240 4700000A
	ds_read_b32 v72, v10 offset:4736                           // 000000004C78: D86C1280 4800000A
	ds_read_b32 v73, v10 offset:4800                           // 000000004C80: D86C12C0 4900000A
	ds_read_b32 v74, v10 offset:4864                           // 000000004C88: D86C1300 4A00000A
	ds_read_b32 v75, v10 offset:4928                           // 000000004C90: D86C1340 4B00000A
	ds_read_b32 v76, v10 offset:4992                           // 000000004C98: D86C1380 4C00000A
	ds_read_b32 v77, v10 offset:5056                           // 000000004CA0: D86C13C0 4D00000A
	ds_read_b32 v78, v10 offset:5120                           // 000000004CA8: D86C1400 4E00000A
	ds_read_b32 v79, v10 offset:5184                           // 000000004CB0: D86C1440 4F00000A
	s_waitcnt lgkmcnt(0)                                       // 000000004CB8: BF8CC07F
	v_max3_f32 v48, v64, v65, v48                              // 000000004CBC: D1D30030 04C28340
	v_max3_f32 v48, v66, v67, v48                              // 000000004CC4: D1D30030 04C28742
	v_max3_f32 v48, v68, v69, v48                              // 000000004CCC: D1D30030 04C28B44
	v_max3_f32 v48, v70, v71, v48                              // 000000004CD4: D1D30030 04C28F46
	v_max3_f32 v48, v72, v73, v48                              // 000000004CDC: D1D30030 04C29348
	v_max3_f32 v48, v74, v75, v48                              // 000000004CE4: D1D30030 04C2974A
	v_max3_f32 v48, v76, v77, v48                              // 000000004CEC: D1D30030 04C29B4C
	v_max3_f32 v48, v78, v79, v48                              // 000000004CF4: D1D30030 04C29F4E
	s_nop 1                                                    // 000000004CFC: BF800001
	v_mov_b32_dpp v38, v48 row_ror:8 row_mask:0xf bank_mask:0xf// 000000004D00: 7E4C02FA FF012830
	v_max_f32_e32 v48, v48, v38                                // 000000004D08: 16604D30
	v_max_f32_e32 v15, v48, v14                                // 000000004D0C: 161E1D30
	v_sub_f32_e32 v49, v14, v15                                // 000000004D10: 04621F0E
	v_mov_b32_e32 v14, v15                                     // 000000004D14: 7E1C030F
	v_mul_f32_e32 v50, s64, v15                                // 000000004D18: 0A641E40
	v_mul_f32_e32 v49, s64, v49                                // 000000004D1C: 0A626240
	v_exp_f32_e32 v49, v49                                     // 000000004D20: 7E624131
	v_fma_f32 v96, v96, s64, -v50                              // 000000004D24: D1CB0060 84C88160
	v_fma_f32 v97, v97, s64, -v50                              // 000000004D2C: D1CB0061 84C88161
	v_exp_f32_e32 v96, v96                                     // 000000004D34: 7EC04160
	v_exp_f32_e32 v97, v97                                     // 000000004D38: 7EC24161
	v_mul_f32_e32 v42, v49, v42                                // 000000004D3C: 0A545531
	v_mov_b32_e32 v43, v96                                     // 000000004D40: 7E560360
	v_add_f32_e32 v43, v97, v43                                // 000000004D44: 02565761
	v_add_f32_e32 v42, v43, v42                                // 000000004D48: 0254552B
	v_cmp_u_f32_e64 s[40:41], v96, v96                         // 000000004D4C: D0480028 0002C160
	v_add3_u32 v18, v96, v21, 1                                // 000000004D54: D1FF0012 02062B60
	v_cndmask_b32_e64 v38, v18, v20, s[40:41]                  // 000000004D5C: D1000026 00A22912
	v_cmp_u_f32_e64 s[40:41], v97, v97                         // 000000004D64: D0480028 0002C361
	v_add3_u32 v18, v97, v21, 1                                // 000000004D6C: D1FF0012 02062B61
	v_cndmask_b32_e64 v39, v18, v20, s[40:41]                  // 000000004D74: D1000027 00A22912
	v_perm_b32 v96, v39, v38, s52                              // 000000004D7C: D1ED0060 00D24D27
	ds_write_b64 v13, v[96:97] offset:5248                     // 000000004D84: D89A1480 0000600D
	s_waitcnt lgkmcnt(0)                                       // 000000004D8C: BF8CC07F
	s_barrier                                                  // 000000004D90: BF8A0000
	ds_read_b64 v[96:97], v12 offset:5248                      // 000000004D94: D8EC1480 6000000C
	ds_read_b64 v[98:99], v12 offset:5376                      // 000000004D9C: D8EC1500 6200000C
	ds_read_b64 v[100:101], v12 offset:6272                    // 000000004DA4: D8EC1880 6400000C
	ds_read_b64 v[102:103], v12 offset:6400                    // 000000004DAC: D8EC1900 6600000C
	s_waitcnt lgkmcnt(0)                                       // 000000004DB4: BF8CC07F
	v_mov_b32_dpp v97, v96 row_shl:8 row_mask:0xf bank_mask:0xf bound_ctrl:1// 000000004DB8: 7EC202FA FF090860
	v_and_b32_e32 v96, v96, v9                                 // 000000004DC0: 26C01360
	v_mov_b32_dpp v99, v98 row_shl:8 row_mask:0xf bank_mask:0xf bound_ctrl:1// 000000004DC4: 7EC602FA FF090862
	v_and_b32_e32 v98, v98, v9                                 // 000000004DCC: 26C41362
	v_mov_b32_dpp v101, v100 row_shl:8 row_mask:0xf bank_mask:0xf bound_ctrl:1// 000000004DD0: 7ECA02FA FF090864
	v_and_b32_e32 v100, v100, v9                               // 000000004DD8: 26C81364
	v_mov_b32_dpp v103, v102 row_shl:8 row_mask:0xf bank_mask:0xf bound_ctrl:1// 000000004DDC: 7ECE02FA FF090866
	v_and_b32_e32 v102, v102, v9                               // 000000004DE4: 26CC1366
	v_mul_f32_e32 v128, v49, v128                              // 000000004DE8: 0B010131
	v_mul_f32_e32 v129, v49, v129                              // 000000004DEC: 0B030331
	v_mul_f32_e32 v130, v49, v130                              // 000000004DF0: 0B050531
	v_mul_f32_e32 v131, v49, v131                              // 000000004DF4: 0B070731
	v_mul_f32_e32 v132, v49, v132                              // 000000004DF8: 0B090931
	v_mul_f32_e32 v133, v49, v133                              // 000000004DFC: 0B0B0B31
	v_mul_f32_e32 v134, v49, v134                              // 000000004E00: 0B0D0D31
	v_mul_f32_e32 v135, v49, v135                              // 000000004E04: 0B0F0F31
	s_waitcnt vmcnt(0)                                         // 000000004E08: BF8C0F70
	v_mfma_f32_16x16x16_bf16 v[128:131], a[192:193], v[96:97], v[128:131]// 000000004E0C: D3E10080 0E02C1C0
	v_mfma_f32_16x16x16_bf16 v[128:131], a[194:195], v[98:99], v[128:131]// 000000004E14: D3E10080 0E02C5C2
	v_mfma_f32_16x16x16_bf16 v[128:131], a[196:197], v[100:101], v[128:131]// 000000004E1C: D3E10080 0E02C9C4
	v_mfma_f32_16x16x16_bf16 v[128:131], a[198:199], v[102:103], v[128:131]// 000000004E24: D3E10080 0E02CDC6
	v_mfma_f32_16x16x16_bf16 v[132:135], a[224:225], v[96:97], v[132:135]// 000000004E2C: D3E10084 0E12C1E0
	v_mfma_f32_16x16x16_bf16 v[132:135], a[226:227], v[98:99], v[132:135]// 000000004E34: D3E10084 0E12C5E2
	v_mfma_f32_16x16x16_bf16 v[132:135], a[228:229], v[100:101], v[132:135]// 000000004E3C: D3E10084 0E12C9E4
	v_mfma_f32_16x16x16_bf16 v[132:135], a[230:231], v[102:103], v[132:135]// 000000004E44: D3E10084 0E12CDE6
	s_nop 8                                                    // 000000004E4C: BF800008
	s_branch label_0F0A                                        // 000000004E50: BF8203F4

0000000000004e54 <label_0B16>:
	s_lshr_b32 s60, s71, 8                                     // 000000004E54: 8F3C8847
	s_and_b32 s60, s60, 1                                      // 000000004E58: 863C813C
	s_cmp_eq_i32 s60, 1                                        // 000000004E5C: BF00813C
	s_cbranch_scc1 label_0D12                                  // 000000004E60: BF8501F8
	s_waitcnt vmcnt(16) lgkmcnt(0)                             // 000000004E64: BF8C4070
	s_barrier                                                  // 000000004E68: BF8A0000
	v_mfma_f32_16x16x16_bf16 v[96:99], a[0:1], v[80:81], 0     // 000000004E6C: D3E10060 0A02A100
	v_mfma_f32_16x16x16_bf16 v[96:99], a[2:3], v[82:83], v[96:99]// 000000004E74: D3E10060 0D82A502
	v_mfma_f32_16x16x16_bf16 v[96:99], a[4:5], v[84:85], v[96:99]// 000000004E7C: D3E10060 0D82A904
	v_mfma_f32_16x16x16_bf16 v[96:99], a[6:7], v[86:87], v[96:99]// 000000004E84: D3E10060 0D82AD06
	v_mfma_f32_16x16x16_bf16 v[96:99], a[8:9], v[88:89], v[96:99]// 000000004E8C: D3E10060 0D82B108
	v_mfma_f32_16x16x16_bf16 v[96:99], a[10:11], v[90:91], v[96:99]// 000000004E94: D3E10060 0D82B50A
	v_mfma_f32_16x16x16_bf16 v[96:99], a[12:13], v[92:93], v[96:99]// 000000004E9C: D3E10060 0D82B90C
	v_mfma_f32_16x16x16_bf16 v[96:99], a[14:15], v[94:95], v[96:99]// 000000004EA4: D3E10060 0D82BD0E
	v_mfma_f32_16x16x16_bf16 v[100:103], a[16:17], v[80:81], 0 // 000000004EAC: D3E10064 0A02A110
	v_mfma_f32_16x16x16_bf16 v[100:103], a[18:19], v[82:83], v[100:103]// 000000004EB4: D3E10064 0D92A512
	v_mfma_f32_16x16x16_bf16 v[100:103], a[20:21], v[84:85], v[100:103]// 000000004EBC: D3E10064 0D92A914
	v_mfma_f32_16x16x16_bf16 v[100:103], a[22:23], v[86:87], v[100:103]// 000000004EC4: D3E10064 0D92AD16
	v_mfma_f32_16x16x16_bf16 v[100:103], a[24:25], v[88:89], v[100:103]// 000000004ECC: D3E10064 0D92B118
	v_mfma_f32_16x16x16_bf16 v[100:103], a[26:27], v[90:91], v[100:103]// 000000004ED4: D3E10064 0D92B51A
	v_mfma_f32_16x16x16_bf16 v[100:103], a[28:29], v[92:93], v[100:103]// 000000004EDC: D3E10064 0D92B91C
	v_mfma_f32_16x16x16_bf16 v[100:103], a[30:31], v[94:95], v[100:103]// 000000004EE4: D3E10064 0D92BD1E
	v_mfma_f32_16x16x16_bf16 v[104:107], a[32:33], v[80:81], 0 // 000000004EEC: D3E10068 0A02A120
	v_mfma_f32_16x16x16_bf16 v[104:107], a[34:35], v[82:83], v[104:107]// 000000004EF4: D3E10068 0DA2A522
	v_mfma_f32_16x16x16_bf16 v[104:107], a[36:37], v[84:85], v[104:107]// 000000004EFC: D3E10068 0DA2A924
	v_mfma_f32_16x16x16_bf16 v[104:107], a[38:39], v[86:87], v[104:107]// 000000004F04: D3E10068 0DA2AD26
	v_mfma_f32_16x16x16_bf16 v[104:107], a[40:41], v[88:89], v[104:107]// 000000004F0C: D3E10068 0DA2B128
	v_mfma_f32_16x16x16_bf16 v[104:107], a[42:43], v[90:91], v[104:107]// 000000004F14: D3E10068 0DA2B52A
	v_mfma_f32_16x16x16_bf16 v[104:107], a[44:45], v[92:93], v[104:107]// 000000004F1C: D3E10068 0DA2B92C
	v_mfma_f32_16x16x16_bf16 v[104:107], a[46:47], v[94:95], v[104:107]// 000000004F24: D3E10068 0DA2BD2E
	v_mfma_f32_16x16x16_bf16 v[108:111], a[48:49], v[80:81], 0 // 000000004F2C: D3E1006C 0A02A130
	v_mfma_f32_16x16x16_bf16 v[108:111], a[50:51], v[82:83], v[108:111]// 000000004F34: D3E1006C 0DB2A532
	v_mfma_f32_16x16x16_bf16 v[108:111], a[52:53], v[84:85], v[108:111]// 000000004F3C: D3E1006C 0DB2A934
	v_mfma_f32_16x16x16_bf16 v[108:111], a[54:55], v[86:87], v[108:111]// 000000004F44: D3E1006C 0DB2AD36
	v_mfma_f32_16x16x16_bf16 v[108:111], a[56:57], v[88:89], v[108:111]// 000000004F4C: D3E1006C 0DB2B138
	v_mfma_f32_16x16x16_bf16 v[108:111], a[58:59], v[90:91], v[108:111]// 000000004F54: D3E1006C 0DB2B53A
	v_mfma_f32_16x16x16_bf16 v[108:111], a[60:61], v[92:93], v[108:111]// 000000004F5C: D3E1006C 0DB2B93C
	v_mfma_f32_16x16x16_bf16 v[108:111], a[62:63], v[94:95], v[108:111]// 000000004F64: D3E1006C 0DB2BD3E
	s_nop 8                                                    // 000000004F6C: BF800008
	s_and_b32 s60, s72, 0xff                                   // 000000004F70: 863CFF48 000000FF
	v_mov_b32_e32 v53, s60                                     // 000000004F78: 7E6A023C
	v_lshrrev_b32_e32 v30, 4, v0                               // 000000004F7C: 203C0084
	v_mul_i32_i24_e32 v30, 4, v30                              // 000000004F80: 0C3C3C84
	s_mul_i32 s60, s7, 16                                      // 000000004F84: 923C9007
	v_add_u32_e32 v30, s60, v30                                // 000000004F88: 683C3C3C
	v_add_u32_e32 v31, 1, v30                                  // 000000004F8C: 683E3C81
	v_add_u32_e32 v32, 2, v30                                  // 000000004F90: 68403C82
	v_add_u32_e32 v33, 3, v30                                  // 000000004F94: 68423C83
	v_and_b32_e32 v38, v52, v9                                 // 000000004F98: 264C1334
	v_cmp_lt_u32_e64 s[40:41], v30, v53                        // 000000004F9C: D0C90028 00026B1E
	v_add_u32_e32 v30, 64, v30                                 // 000000004FA4: 683C3CC0
	s_nop 0                                                    // 000000004FA8: BF800000
	v_cndmask_b32_e64 v96, v38, v96, s[40:41]                  // 000000004FAC: D1000060 00A2C126
	v_cmp_lt_u32_e64 s[40:41], v31, v53                        // 000000004FB4: D0C90028 00026B1F
	v_add_u32_e32 v31, 64, v31                                 // 000000004FBC: 683E3EC0
	s_nop 0                                                    // 000000004FC0: BF800000
	v_cndmask_b32_e64 v97, v38, v97, s[40:41]                  // 000000004FC4: D1000061 00A2C326
	v_cmp_lt_u32_e64 s[40:41], v32, v53                        // 000000004FCC: D0C90028 00026B20
	v_add_u32_e32 v32, 64, v32                                 // 000000004FD4: 684040C0
	s_nop 0                                                    // 000000004FD8: BF800000
	v_cndmask_b32_e64 v98, v38, v98, s[40:41]                  // 000000004FDC: D1000062 00A2C526
	v_cmp_lt_u32_e64 s[40:41], v33, v53                        // 000000004FE4: D0C90028 00026B21
	v_add_u32_e32 v33, 64, v33                                 // 000000004FEC: 684242C0
	s_nop 0                                                    // 000000004FF0: BF800000
	v_cndmask_b32_e64 v99, v38, v99, s[40:41]                  // 000000004FF4: D1000063 00A2C726
	v_cmp_lt_u32_e64 s[40:41], v30, v53                        // 000000004FFC: D0C90028 00026B1E
	v_add_u32_e32 v30, 64, v30                                 // 000000005004: 683C3CC0
	s_nop 0                                                    // 000000005008: BF800000
	v_cndmask_b32_e64 v100, v38, v100, s[40:41]                // 00000000500C: D1000064 00A2C926
	v_cmp_lt_u32_e64 s[40:41], v31, v53                        // 000000005014: D0C90028 00026B1F
	v_add_u32_e32 v31, 64, v31                                 // 00000000501C: 683E3EC0
	s_nop 0                                                    // 000000005020: BF800000
	v_cndmask_b32_e64 v101, v38, v101, s[40:41]                // 000000005024: D1000065 00A2CB26
	v_cmp_lt_u32_e64 s[40:41], v32, v53                        // 00000000502C: D0C90028 00026B20
	v_add_u32_e32 v32, 64, v32                                 // 000000005034: 684040C0
	s_nop 0                                                    // 000000005038: BF800000
	v_cndmask_b32_e64 v102, v38, v102, s[40:41]                // 00000000503C: D1000066 00A2CD26
	v_cmp_lt_u32_e64 s[40:41], v33, v53                        // 000000005044: D0C90028 00026B21
	v_add_u32_e32 v33, 64, v33                                 // 00000000504C: 684242C0
	s_nop 0                                                    // 000000005050: BF800000
	v_cndmask_b32_e64 v103, v38, v103, s[40:41]                // 000000005054: D1000067 00A2CF26
	v_cmp_lt_u32_e64 s[40:41], v30, v53                        // 00000000505C: D0C90028 00026B1E
	v_add_u32_e32 v30, 64, v30                                 // 000000005064: 683C3CC0
	s_nop 0                                                    // 000000005068: BF800000
	v_cndmask_b32_e64 v104, v38, v104, s[40:41]                // 00000000506C: D1000068 00A2D126
	v_cmp_lt_u32_e64 s[40:41], v31, v53                        // 000000005074: D0C90028 00026B1F
	v_add_u32_e32 v31, 64, v31                                 // 00000000507C: 683E3EC0
	s_nop 0                                                    // 000000005080: BF800000
	v_cndmask_b32_e64 v105, v38, v105, s[40:41]                // 000000005084: D1000069 00A2D326
	v_cmp_lt_u32_e64 s[40:41], v32, v53                        // 00000000508C: D0C90028 00026B20
	v_add_u32_e32 v32, 64, v32                                 // 000000005094: 684040C0
	s_nop 0                                                    // 000000005098: BF800000
	v_cndmask_b32_e64 v106, v38, v106, s[40:41]                // 00000000509C: D100006A 00A2D526
	v_cmp_lt_u32_e64 s[40:41], v33, v53                        // 0000000050A4: D0C90028 00026B21
	v_add_u32_e32 v33, 64, v33                                 // 0000000050AC: 684242C0
	s_nop 0                                                    // 0000000050B0: BF800000
	v_cndmask_b32_e64 v107, v38, v107, s[40:41]                // 0000000050B4: D100006B 00A2D726
	v_cmp_lt_u32_e64 s[40:41], v30, v53                        // 0000000050BC: D0C90028 00026B1E
	v_add_u32_e32 v30, 64, v30                                 // 0000000050C4: 683C3CC0
	s_nop 0                                                    // 0000000050C8: BF800000
	v_cndmask_b32_e64 v108, v38, v108, s[40:41]                // 0000000050CC: D100006C 00A2D926
	v_cmp_lt_u32_e64 s[40:41], v31, v53                        // 0000000050D4: D0C90028 00026B1F
	v_add_u32_e32 v31, 64, v31                                 // 0000000050DC: 683E3EC0
	s_nop 0                                                    // 0000000050E0: BF800000
	v_cndmask_b32_e64 v109, v38, v109, s[40:41]                // 0000000050E4: D100006D 00A2DB26
	v_cmp_lt_u32_e64 s[40:41], v32, v53                        // 0000000050EC: D0C90028 00026B20
	v_add_u32_e32 v32, 64, v32                                 // 0000000050F4: 684040C0
	s_nop 0                                                    // 0000000050F8: BF800000
	v_cndmask_b32_e64 v110, v38, v110, s[40:41]                // 0000000050FC: D100006E 00A2DD26
	v_cmp_lt_u32_e64 s[40:41], v33, v53                        // 000000005104: D0C90028 00026B21
	v_add_u32_e32 v33, 64, v33                                 // 00000000510C: 684242C0
	s_nop 0                                                    // 000000005110: BF800000
	v_cndmask_b32_e64 v111, v38, v111, s[40:41]                // 000000005114: D100006F 00A2DF26
	s_nop 8                                                    // 00000000511C: BF800008
	v_or_b32_dpp v96, v104, v96 row_shr:8 row_mask:0xf bank_mask:0xf bound_ctrl:1// 000000005120: 28C0C0FA FF091868
	v_or_b32_dpp v97, v105, v97 row_shr:8 row_mask:0xf bank_mask:0xf bound_ctrl:1// 000000005128: 28C2C2FA FF091869
	v_or_b32_dpp v98, v106, v98 row_shr:8 row_mask:0xf bank_mask:0xf bound_ctrl:1// 000000005130: 28C4C4FA FF09186A
	v_or_b32_dpp v99, v107, v99 row_shr:8 row_mask:0xf bank_mask:0xf bound_ctrl:1// 000000005138: 28C6C6FA FF09186B
	v_or_b32_dpp v100, v108, v100 row_shr:8 row_mask:0xf bank_mask:0xf bound_ctrl:1// 000000005140: 28C8C8FA FF09186C
	v_or_b32_dpp v101, v109, v101 row_shr:8 row_mask:0xf bank_mask:0xf bound_ctrl:1// 000000005148: 28CACAFA FF09186D
	v_or_b32_dpp v102, v110, v102 row_shr:8 row_mask:0xf bank_mask:0xf bound_ctrl:1// 000000005150: 28CCCCFA FF09186E
	v_or_b32_dpp v103, v111, v103 row_shr:8 row_mask:0xf bank_mask:0xf bound_ctrl:1// 000000005158: 28CECEFA FF09186F
	v_mov_b32_e32 v48, v96                                     // 000000005160: 7E600360
	v_max3_f32 v48, v96, v97, v48                              // 000000005164: D1D30030 04C2C360
	v_max3_f32 v48, v98, v99, v48                              // 00000000516C: D1D30030 04C2C762
	v_max3_f32 v48, v100, v101, v48                            // 000000005174: D1D30030 04C2CB64
	v_max3_f32 v48, v102, v103, v48                            // 00000000517C: D1D30030 04C2CF66
	ds_write_b32 v11, v48 offset:4224                          // 000000005184: D81A1080 0000300B
	s_waitcnt lgkmcnt(0)                                       // 00000000518C: BF8CC07F
	s_barrier                                                  // 000000005190: BF8A0000
	ds_read_b32 v64, v10 offset:4224                           // 000000005194: D86C1080 4000000A
	ds_read_b32 v65, v10 offset:4288                           // 00000000519C: D86C10C0 4100000A
	ds_read_b32 v66, v10 offset:4352                           // 0000000051A4: D86C1100 4200000A
	ds_read_b32 v67, v10 offset:4416                           // 0000000051AC: D86C1140 4300000A
	ds_read_b32 v68, v10 offset:4480                           // 0000000051B4: D86C1180 4400000A
	ds_read_b32 v69, v10 offset:4544                           // 0000000051BC: D86C11C0 4500000A
	ds_read_b32 v70, v10 offset:4608                           // 0000000051C4: D86C1200 4600000A
	ds_read_b32 v71, v10 offset:4672                           // 0000000051CC: D86C1240 4700000A
	ds_read_b32 v72, v10 offset:4736                           // 0000000051D4: D86C1280 4800000A
	ds_read_b32 v73, v10 offset:4800                           // 0000000051DC: D86C12C0 4900000A
	ds_read_b32 v74, v10 offset:4864                           // 0000000051E4: D86C1300 4A00000A
	ds_read_b32 v75, v10 offset:4928                           // 0000000051EC: D86C1340 4B00000A
	ds_read_b32 v76, v10 offset:4992                           // 0000000051F4: D86C1380 4C00000A
	ds_read_b32 v77, v10 offset:5056                           // 0000000051FC: D86C13C0 4D00000A
	ds_read_b32 v78, v10 offset:5120                           // 000000005204: D86C1400 4E00000A
	ds_read_b32 v79, v10 offset:5184                           // 00000000520C: D86C1440 4F00000A
	s_waitcnt lgkmcnt(0)                                       // 000000005214: BF8CC07F
	v_max3_f32 v48, v64, v65, v48                              // 000000005218: D1D30030 04C28340
	v_max3_f32 v48, v66, v67, v48                              // 000000005220: D1D30030 04C28742
	v_max3_f32 v48, v68, v69, v48                              // 000000005228: D1D30030 04C28B44
	v_max3_f32 v48, v70, v71, v48                              // 000000005230: D1D30030 04C28F46
	v_max3_f32 v48, v72, v73, v48                              // 000000005238: D1D30030 04C29348
	v_max3_f32 v48, v74, v75, v48                              // 000000005240: D1D30030 04C2974A
	v_max3_f32 v48, v76, v77, v48                              // 000000005248: D1D30030 04C29B4C
	v_max3_f32 v48, v78, v79, v48                              // 000000005250: D1D30030 04C29F4E
	v_cmp_eq_u32_e64 s[40:41], v52, v14                        // 000000005258: D0CA0028 00021D34
	s_nop 1                                                    // 000000005260: BF800001
	v_mov_b32_dpp v38, v48 row_ror:8 row_mask:0xf bank_mask:0xf// 000000005264: 7E4C02FA FF012830
	v_max_f32_e32 v48, v48, v38                                // 00000000526C: 16604D30
	v_max_f32_e32 v15, v48, v14                                // 000000005270: 161E1D30
	v_sub_f32_e32 v49, v14, v15                                // 000000005274: 04621F0E
	v_cndmask_b32_e64 v49, v49, 0, s[40:41]                    // 000000005278: D1000031 00A10131
	v_mov_b32_e32 v14, v15                                     // 000000005280: 7E1C030F
	v_mul_f32_e32 v50, s64, v15                                // 000000005284: 0A641E40
	v_mul_f32_e32 v49, s64, v49                                // 000000005288: 0A626240
	v_exp_f32_e32 v49, v49                                     // 00000000528C: 7E624131
	v_fma_f32 v96, v96, s64, -v50                              // 000000005290: D1CB0060 84C88160
	v_fma_f32 v97, v97, s64, -v50                              // 000000005298: D1CB0061 84C88161
	v_fma_f32 v98, v98, s64, -v50                              // 0000000052A0: D1CB0062 84C88162
	v_fma_f32 v99, v99, s64, -v50                              // 0000000052A8: D1CB0063 84C88163
	v_fma_f32 v100, v100, s64, -v50                            // 0000000052B0: D1CB0064 84C88164
	v_fma_f32 v101, v101, s64, -v50                            // 0000000052B8: D1CB0065 84C88165
	v_fma_f32 v102, v102, s64, -v50                            // 0000000052C0: D1CB0066 84C88166
	v_fma_f32 v103, v103, s64, -v50                            // 0000000052C8: D1CB0067 84C88167
	v_exp_f32_e32 v96, v96                                     // 0000000052D0: 7EC04160
	v_exp_f32_e32 v97, v97                                     // 0000000052D4: 7EC24161
	v_exp_f32_e32 v98, v98                                     // 0000000052D8: 7EC44162
	v_exp_f32_e32 v99, v99                                     // 0000000052DC: 7EC64163
	v_exp_f32_e32 v100, v100                                   // 0000000052E0: 7EC84164
	v_exp_f32_e32 v101, v101                                   // 0000000052E4: 7ECA4165
	v_exp_f32_e32 v102, v102                                   // 0000000052E8: 7ECC4166
	v_exp_f32_e32 v103, v103                                   // 0000000052EC: 7ECE4167
	v_mul_f32_e32 v42, v49, v42                                // 0000000052F0: 0A545531
	v_mov_b32_e32 v43, v96                                     // 0000000052F4: 7E560360
	v_add_f32_e32 v43, v97, v43                                // 0000000052F8: 02565761
	v_add_f32_e32 v43, v98, v43                                // 0000000052FC: 02565762
	v_add_f32_e32 v43, v99, v43                                // 000000005300: 02565763
	v_add_f32_e32 v43, v100, v43                               // 000000005304: 02565764
	v_add_f32_e32 v43, v101, v43                               // 000000005308: 02565765
	v_add_f32_e32 v43, v102, v43                               // 00000000530C: 02565766
	v_add_f32_e32 v43, v103, v43                               // 000000005310: 02565767
	v_add_f32_e32 v42, v43, v42                                // 000000005314: 0254552B
	v_cmp_u_f32_e64 s[40:41], v96, v96                         // 000000005318: D0480028 0002C160
	v_add3_u32 v18, v96, v21, 1                                // 000000005320: D1FF0012 02062B60
	v_cndmask_b32_e64 v38, v18, v20, s[40:41]                  // 000000005328: D1000026 00A22912
	v_cmp_u_f32_e64 s[40:41], v97, v97                         // 000000005330: D0480028 0002C361
	v_add3_u32 v18, v97, v21, 1                                // 000000005338: D1FF0012 02062B61
	v_cndmask_b32_e64 v39, v18, v20, s[40:41]                  // 000000005340: D1000027 00A22912
	v_perm_b32 v96, v39, v38, s52                              // 000000005348: D1ED0060 00D24D27
	v_cmp_u_f32_e64 s[40:41], v98, v98                         // 000000005350: D0480028 0002C562
	v_add3_u32 v18, v98, v21, 1                                // 000000005358: D1FF0012 02062B62
	v_cndmask_b32_e64 v38, v18, v20, s[40:41]                  // 000000005360: D1000026 00A22912
	v_cmp_u_f32_e64 s[40:41], v99, v99                         // 000000005368: D0480028 0002C763
	v_add3_u32 v18, v99, v21, 1                                // 000000005370: D1FF0012 02062B63
	v_cndmask_b32_e64 v39, v18, v20, s[40:41]                  // 000000005378: D1000027 00A22912
	v_perm_b32 v97, v39, v38, s52                              // 000000005380: D1ED0061 00D24D27
	v_cmp_u_f32_e64 s[40:41], v100, v100                       // 000000005388: D0480028 0002C964
	v_add3_u32 v18, v100, v21, 1                               // 000000005390: D1FF0012 02062B64
	v_cndmask_b32_e64 v38, v18, v20, s[40:41]                  // 000000005398: D1000026 00A22912
	v_cmp_u_f32_e64 s[40:41], v101, v101                       // 0000000053A0: D0480028 0002CB65
	v_add3_u32 v18, v101, v21, 1                               // 0000000053A8: D1FF0012 02062B65
	v_cndmask_b32_e64 v39, v18, v20, s[40:41]                  // 0000000053B0: D1000027 00A22912
	v_perm_b32 v98, v39, v38, s52                              // 0000000053B8: D1ED0062 00D24D27
	v_cmp_u_f32_e64 s[40:41], v102, v102                       // 0000000053C0: D0480028 0002CD66
	v_add3_u32 v18, v102, v21, 1                               // 0000000053C8: D1FF0012 02062B66
	v_cndmask_b32_e64 v38, v18, v20, s[40:41]                  // 0000000053D0: D1000026 00A22912
	v_cmp_u_f32_e64 s[40:41], v103, v103                       // 0000000053D8: D0480028 0002CF67
	v_add3_u32 v18, v103, v21, 1                               // 0000000053E0: D1FF0012 02062B67
	v_cndmask_b32_e64 v39, v18, v20, s[40:41]                  // 0000000053E8: D1000027 00A22912
	v_perm_b32 v99, v39, v38, s52                              // 0000000053F0: D1ED0063 00D24D27
	ds_write_b64 v13, v[96:97] offset:5248                     // 0000000053F8: D89A1480 0000600D
	ds_write_b64 v13, v[98:99] offset:7296                     // 000000005400: D89A1C80 0000620D
	s_waitcnt lgkmcnt(0)                                       // 000000005408: BF8CC07F
	s_barrier                                                  // 00000000540C: BF8A0000
	ds_read_b64 v[96:97], v12 offset:5248                      // 000000005410: D8EC1480 6000000C
	ds_read_b64 v[98:99], v12 offset:5376                      // 000000005418: D8EC1500 6200000C
	ds_read_b64 v[100:101], v12 offset:6272                    // 000000005420: D8EC1880 6400000C
	ds_read_b64 v[102:103], v12 offset:6400                    // 000000005428: D8EC1900 6600000C
	ds_read_b64 v[104:105], v12 offset:7296                    // 000000005430: D8EC1C80 6800000C
	ds_read_b64 v[106:107], v12 offset:7424                    // 000000005438: D8EC1D00 6A00000C
	ds_read_b64 v[108:109], v12 offset:8320                    // 000000005440: D8EC2080 6C00000C
	ds_read_b64 v[110:111], v12 offset:8448                    // 000000005448: D8EC2100 6E00000C
	s_waitcnt lgkmcnt(0)                                       // 000000005450: BF8CC07F
	v_mov_b32_dpp v112, v96 row_shl:8 row_mask:0xf bank_mask:0xf bound_ctrl:1// 000000005454: 7EE002FA FF090860
	v_and_b32_e32 v96, v96, v9                                 // 00000000545C: 26C01360
	v_mov_b32_dpp v113, v97 row_shl:8 row_mask:0xf bank_mask:0xf bound_ctrl:1// 000000005460: 7EE202FA FF090861
	v_and_b32_e32 v97, v97, v9                                 // 000000005468: 26C21361
	v_mov_b32_dpp v114, v98 row_shl:8 row_mask:0xf bank_mask:0xf bound_ctrl:1// 00000000546C: 7EE402FA FF090862
	v_and_b32_e32 v98, v98, v9                                 // 000000005474: 26C41362
	v_mov_b32_dpp v115, v99 row_shl:8 row_mask:0xf bank_mask:0xf bound_ctrl:1// 000000005478: 7EE602FA FF090863
	v_and_b32_e32 v99, v99, v9                                 // 000000005480: 26C61363
	v_mov_b32_dpp v116, v100 row_shl:8 row_mask:0xf bank_mask:0xf bound_ctrl:1// 000000005484: 7EE802FA FF090864
	v_and_b32_e32 v100, v100, v9                               // 00000000548C: 26C81364
	v_mov_b32_dpp v117, v101 row_shl:8 row_mask:0xf bank_mask:0xf bound_ctrl:1// 000000005490: 7EEA02FA FF090865
	v_and_b32_e32 v101, v101, v9                               // 000000005498: 26CA1365
	v_mov_b32_dpp v118, v102 row_shl:8 row_mask:0xf bank_mask:0xf bound_ctrl:1// 00000000549C: 7EEC02FA FF090866
	v_and_b32_e32 v102, v102, v9                               // 0000000054A4: 26CC1366
	v_mov_b32_dpp v119, v103 row_shl:8 row_mask:0xf bank_mask:0xf bound_ctrl:1// 0000000054A8: 7EEE02FA FF090867
	v_and_b32_e32 v103, v103, v9                               // 0000000054B0: 26CE1367
	v_mov_b32_dpp v120, v104 row_shl:8 row_mask:0xf bank_mask:0xf bound_ctrl:1// 0000000054B4: 7EF002FA FF090868
	v_and_b32_e32 v104, v104, v9                               // 0000000054BC: 26D01368
	v_mov_b32_dpp v121, v105 row_shl:8 row_mask:0xf bank_mask:0xf bound_ctrl:1// 0000000054C0: 7EF202FA FF090869
	v_and_b32_e32 v105, v105, v9                               // 0000000054C8: 26D21369
	v_mov_b32_dpp v122, v106 row_shl:8 row_mask:0xf bank_mask:0xf bound_ctrl:1// 0000000054CC: 7EF402FA FF09086A
	v_and_b32_e32 v106, v106, v9                               // 0000000054D4: 26D4136A
	v_mov_b32_dpp v123, v107 row_shl:8 row_mask:0xf bank_mask:0xf bound_ctrl:1// 0000000054D8: 7EF602FA FF09086B
	v_and_b32_e32 v107, v107, v9                               // 0000000054E0: 26D6136B
	v_mov_b32_dpp v124, v108 row_shl:8 row_mask:0xf bank_mask:0xf bound_ctrl:1// 0000000054E4: 7EF802FA FF09086C
	v_and_b32_e32 v108, v108, v9                               // 0000000054EC: 26D8136C
	v_mov_b32_dpp v125, v109 row_shl:8 row_mask:0xf bank_mask:0xf bound_ctrl:1// 0000000054F0: 7EFA02FA FF09086D
	v_and_b32_e32 v109, v109, v9                               // 0000000054F8: 26DA136D
	v_mov_b32_dpp v126, v110 row_shl:8 row_mask:0xf bank_mask:0xf bound_ctrl:1// 0000000054FC: 7EFC02FA FF09086E
	v_and_b32_e32 v110, v110, v9                               // 000000005504: 26DC136E
	v_mov_b32_dpp v127, v111 row_shl:8 row_mask:0xf bank_mask:0xf bound_ctrl:1// 000000005508: 7EFE02FA FF09086F
	v_and_b32_e32 v111, v111, v9                               // 000000005510: 26DE136F
	v_mul_f32_e32 v128, v49, v128                              // 000000005514: 0B010131
	v_mul_f32_e32 v129, v49, v129                              // 000000005518: 0B030331
	v_mul_f32_e32 v130, v49, v130                              // 00000000551C: 0B050531
	v_mul_f32_e32 v131, v49, v131                              // 000000005520: 0B070731
	v_mul_f32_e32 v132, v49, v132                              // 000000005524: 0B090931
	v_mul_f32_e32 v133, v49, v133                              // 000000005528: 0B0B0B31
	v_mul_f32_e32 v134, v49, v134                              // 00000000552C: 0B0D0D31
	v_mul_f32_e32 v135, v49, v135                              // 000000005530: 0B0F0F31
	s_waitcnt vmcnt(0)                                         // 000000005534: BF8C0F70
	s_barrier                                                  // 000000005538: BF8A0000
	v_mfma_f32_16x16x16_bf16 v[128:131], a[128:129], v[96:97], v[128:131]// 00000000553C: D3E10080 0E02C180
	v_mfma_f32_16x16x16_bf16 v[128:131], a[130:131], v[98:99], v[128:131]// 000000005544: D3E10080 0E02C582
	v_mfma_f32_16x16x16_bf16 v[128:131], a[132:133], v[100:101], v[128:131]// 00000000554C: D3E10080 0E02C984
	v_mfma_f32_16x16x16_bf16 v[128:131], a[134:135], v[102:103], v[128:131]// 000000005554: D3E10080 0E02CD86
	v_mfma_f32_16x16x16_bf16 v[128:131], a[136:137], v[104:105], v[128:131]// 00000000555C: D3E10080 0E02D188
	v_mfma_f32_16x16x16_bf16 v[128:131], a[138:139], v[106:107], v[128:131]// 000000005564: D3E10080 0E02D58A
	v_mfma_f32_16x16x16_bf16 v[128:131], a[140:141], v[108:109], v[128:131]// 00000000556C: D3E10080 0E02D98C
	v_mfma_f32_16x16x16_bf16 v[128:131], a[142:143], v[110:111], v[128:131]// 000000005574: D3E10080 0E02DD8E
	v_mfma_f32_16x16x16_bf16 v[128:131], a[144:145], v[112:113], v[128:131]// 00000000557C: D3E10080 0E02E190
	v_mfma_f32_16x16x16_bf16 v[128:131], a[146:147], v[114:115], v[128:131]// 000000005584: D3E10080 0E02E592
	v_mfma_f32_16x16x16_bf16 v[128:131], a[148:149], v[116:117], v[128:131]// 00000000558C: D3E10080 0E02E994
	v_mfma_f32_16x16x16_bf16 v[128:131], a[150:151], v[118:119], v[128:131]// 000000005594: D3E10080 0E02ED96
	v_mfma_f32_16x16x16_bf16 v[128:131], a[152:153], v[120:121], v[128:131]// 00000000559C: D3E10080 0E02F198
	v_mfma_f32_16x16x16_bf16 v[128:131], a[154:155], v[122:123], v[128:131]// 0000000055A4: D3E10080 0E02F59A
	v_mfma_f32_16x16x16_bf16 v[128:131], a[156:157], v[124:125], v[128:131]// 0000000055AC: D3E10080 0E02F99C
	v_mfma_f32_16x16x16_bf16 v[128:131], a[158:159], v[126:127], v[128:131]// 0000000055B4: D3E10080 0E02FD9E
	v_mfma_f32_16x16x16_bf16 v[132:135], a[160:161], v[96:97], v[132:135]// 0000000055BC: D3E10084 0E12C1A0
	v_mfma_f32_16x16x16_bf16 v[132:135], a[162:163], v[98:99], v[132:135]// 0000000055C4: D3E10084 0E12C5A2
	v_mfma_f32_16x16x16_bf16 v[132:135], a[164:165], v[100:101], v[132:135]// 0000000055CC: D3E10084 0E12C9A4
	v_mfma_f32_16x16x16_bf16 v[132:135], a[166:167], v[102:103], v[132:135]// 0000000055D4: D3E10084 0E12CDA6
	v_mfma_f32_16x16x16_bf16 v[132:135], a[168:169], v[104:105], v[132:135]// 0000000055DC: D3E10084 0E12D1A8
	v_mfma_f32_16x16x16_bf16 v[132:135], a[170:171], v[106:107], v[132:135]// 0000000055E4: D3E10084 0E12D5AA
	v_mfma_f32_16x16x16_bf16 v[132:135], a[172:173], v[108:109], v[132:135]// 0000000055EC: D3E10084 0E12D9AC
	v_mfma_f32_16x16x16_bf16 v[132:135], a[174:175], v[110:111], v[132:135]// 0000000055F4: D3E10084 0E12DDAE
	v_mfma_f32_16x16x16_bf16 v[132:135], a[176:177], v[112:113], v[132:135]// 0000000055FC: D3E10084 0E12E1B0
	v_mfma_f32_16x16x16_bf16 v[132:135], a[178:179], v[114:115], v[132:135]// 000000005604: D3E10084 0E12E5B2
	v_mfma_f32_16x16x16_bf16 v[132:135], a[180:181], v[116:117], v[132:135]// 00000000560C: D3E10084 0E12E9B4
	v_mfma_f32_16x16x16_bf16 v[132:135], a[182:183], v[118:119], v[132:135]// 000000005614: D3E10084 0E12EDB6
	v_mfma_f32_16x16x16_bf16 v[132:135], a[184:185], v[120:121], v[132:135]// 00000000561C: D3E10084 0E12F1B8
	v_mfma_f32_16x16x16_bf16 v[132:135], a[186:187], v[122:123], v[132:135]// 000000005624: D3E10084 0E12F5BA
	v_mfma_f32_16x16x16_bf16 v[132:135], a[188:189], v[124:125], v[132:135]// 00000000562C: D3E10084 0E12F9BC
	v_mfma_f32_16x16x16_bf16 v[132:135], a[190:191], v[126:127], v[132:135]// 000000005634: D3E10084 0E12FDBE
	s_nop 8                                                    // 00000000563C: BF800008
	s_branch label_0F0A                                        // 000000005640: BF8201F8

0000000000005644 <label_0D12>:
	s_waitcnt vmcnt(16) lgkmcnt(0)                             // 000000005644: BF8C4070
	s_barrier                                                  // 000000005648: BF8A0000
	v_mfma_f32_16x16x16_bf16 v[96:99], a[64:65], v[80:81], 0   // 00000000564C: D3E10060 0A02A140
	v_mfma_f32_16x16x16_bf16 v[96:99], a[66:67], v[82:83], v[96:99]// 000000005654: D3E10060 0D82A542
	v_mfma_f32_16x16x16_bf16 v[96:99], a[68:69], v[84:85], v[96:99]// 00000000565C: D3E10060 0D82A944
	v_mfma_f32_16x16x16_bf16 v[96:99], a[70:71], v[86:87], v[96:99]// 000000005664: D3E10060 0D82AD46
	v_mfma_f32_16x16x16_bf16 v[96:99], a[72:73], v[88:89], v[96:99]// 00000000566C: D3E10060 0D82B148
	v_mfma_f32_16x16x16_bf16 v[96:99], a[74:75], v[90:91], v[96:99]// 000000005674: D3E10060 0D82B54A
	v_mfma_f32_16x16x16_bf16 v[96:99], a[76:77], v[92:93], v[96:99]// 00000000567C: D3E10060 0D82B94C
	v_mfma_f32_16x16x16_bf16 v[96:99], a[78:79], v[94:95], v[96:99]// 000000005684: D3E10060 0D82BD4E
	v_mfma_f32_16x16x16_bf16 v[100:103], a[80:81], v[80:81], 0 // 00000000568C: D3E10064 0A02A150
	v_mfma_f32_16x16x16_bf16 v[100:103], a[82:83], v[82:83], v[100:103]// 000000005694: D3E10064 0D92A552
	v_mfma_f32_16x16x16_bf16 v[100:103], a[84:85], v[84:85], v[100:103]// 00000000569C: D3E10064 0D92A954
	v_mfma_f32_16x16x16_bf16 v[100:103], a[86:87], v[86:87], v[100:103]// 0000000056A4: D3E10064 0D92AD56
	v_mfma_f32_16x16x16_bf16 v[100:103], a[88:89], v[88:89], v[100:103]// 0000000056AC: D3E10064 0D92B158
	v_mfma_f32_16x16x16_bf16 v[100:103], a[90:91], v[90:91], v[100:103]// 0000000056B4: D3E10064 0D92B55A
	v_mfma_f32_16x16x16_bf16 v[100:103], a[92:93], v[92:93], v[100:103]// 0000000056BC: D3E10064 0D92B95C
	v_mfma_f32_16x16x16_bf16 v[100:103], a[94:95], v[94:95], v[100:103]// 0000000056C4: D3E10064 0D92BD5E
	v_mfma_f32_16x16x16_bf16 v[104:107], a[96:97], v[80:81], 0 // 0000000056CC: D3E10068 0A02A160
	v_mfma_f32_16x16x16_bf16 v[104:107], a[98:99], v[82:83], v[104:107]// 0000000056D4: D3E10068 0DA2A562
	v_mfma_f32_16x16x16_bf16 v[104:107], a[100:101], v[84:85], v[104:107]// 0000000056DC: D3E10068 0DA2A964
	v_mfma_f32_16x16x16_bf16 v[104:107], a[102:103], v[86:87], v[104:107]// 0000000056E4: D3E10068 0DA2AD66
	v_mfma_f32_16x16x16_bf16 v[104:107], a[104:105], v[88:89], v[104:107]// 0000000056EC: D3E10068 0DA2B168
	v_mfma_f32_16x16x16_bf16 v[104:107], a[106:107], v[90:91], v[104:107]// 0000000056F4: D3E10068 0DA2B56A
	v_mfma_f32_16x16x16_bf16 v[104:107], a[108:109], v[92:93], v[104:107]// 0000000056FC: D3E10068 0DA2B96C
	v_mfma_f32_16x16x16_bf16 v[104:107], a[110:111], v[94:95], v[104:107]// 000000005704: D3E10068 0DA2BD6E
	v_mfma_f32_16x16x16_bf16 v[108:111], a[112:113], v[80:81], 0// 00000000570C: D3E1006C 0A02A170
	v_mfma_f32_16x16x16_bf16 v[108:111], a[114:115], v[82:83], v[108:111]// 000000005714: D3E1006C 0DB2A572
	v_mfma_f32_16x16x16_bf16 v[108:111], a[116:117], v[84:85], v[108:111]// 00000000571C: D3E1006C 0DB2A974
	v_mfma_f32_16x16x16_bf16 v[108:111], a[118:119], v[86:87], v[108:111]// 000000005724: D3E1006C 0DB2AD76
	v_mfma_f32_16x16x16_bf16 v[108:111], a[120:121], v[88:89], v[108:111]// 00000000572C: D3E1006C 0DB2B178
	v_mfma_f32_16x16x16_bf16 v[108:111], a[122:123], v[90:91], v[108:111]// 000000005734: D3E1006C 0DB2B57A
	v_mfma_f32_16x16x16_bf16 v[108:111], a[124:125], v[92:93], v[108:111]// 00000000573C: D3E1006C 0DB2B97C
	v_mfma_f32_16x16x16_bf16 v[108:111], a[126:127], v[94:95], v[108:111]// 000000005744: D3E1006C 0DB2BD7E
	s_nop 8                                                    // 00000000574C: BF800008
	s_and_b32 s60, s72, 0xff                                   // 000000005750: 863CFF48 000000FF
	v_mov_b32_e32 v53, s60                                     // 000000005758: 7E6A023C
	v_lshrrev_b32_e32 v30, 4, v0                               // 00000000575C: 203C0084
	v_mul_i32_i24_e32 v30, 4, v30                              // 000000005760: 0C3C3C84
	s_mul_i32 s60, s7, 16                                      // 000000005764: 923C9007
	v_add_u32_e32 v30, s60, v30                                // 000000005768: 683C3C3C
	v_add_u32_e32 v31, 1, v30                                  // 00000000576C: 683E3C81
	v_add_u32_e32 v32, 2, v30                                  // 000000005770: 68403C82
	v_add_u32_e32 v33, 3, v30                                  // 000000005774: 68423C83
	v_and_b32_e32 v38, v52, v9                                 // 000000005778: 264C1334
	v_cmp_lt_u32_e64 s[40:41], v30, v53                        // 00000000577C: D0C90028 00026B1E
	v_add_u32_e32 v30, 64, v30                                 // 000000005784: 683C3CC0
	s_nop 0                                                    // 000000005788: BF800000
	v_cndmask_b32_e64 v96, v38, v96, s[40:41]                  // 00000000578C: D1000060 00A2C126
	v_cmp_lt_u32_e64 s[40:41], v31, v53                        // 000000005794: D0C90028 00026B1F
	v_add_u32_e32 v31, 64, v31                                 // 00000000579C: 683E3EC0
	s_nop 0                                                    // 0000000057A0: BF800000
	v_cndmask_b32_e64 v97, v38, v97, s[40:41]                  // 0000000057A4: D1000061 00A2C326
	v_cmp_lt_u32_e64 s[40:41], v32, v53                        // 0000000057AC: D0C90028 00026B20
	v_add_u32_e32 v32, 64, v32                                 // 0000000057B4: 684040C0
	s_nop 0                                                    // 0000000057B8: BF800000
	v_cndmask_b32_e64 v98, v38, v98, s[40:41]                  // 0000000057BC: D1000062 00A2C526
	v_cmp_lt_u32_e64 s[40:41], v33, v53                        // 0000000057C4: D0C90028 00026B21
	v_add_u32_e32 v33, 64, v33                                 // 0000000057CC: 684242C0
	s_nop 0                                                    // 0000000057D0: BF800000
	v_cndmask_b32_e64 v99, v38, v99, s[40:41]                  // 0000000057D4: D1000063 00A2C726
	v_cmp_lt_u32_e64 s[40:41], v30, v53                        // 0000000057DC: D0C90028 00026B1E
	v_add_u32_e32 v30, 64, v30                                 // 0000000057E4: 683C3CC0
	s_nop 0                                                    // 0000000057E8: BF800000
	v_cndmask_b32_e64 v100, v38, v100, s[40:41]                // 0000000057EC: D1000064 00A2C926
	v_cmp_lt_u32_e64 s[40:41], v31, v53                        // 0000000057F4: D0C90028 00026B1F
	v_add_u32_e32 v31, 64, v31                                 // 0000000057FC: 683E3EC0
	s_nop 0                                                    // 000000005800: BF800000
	v_cndmask_b32_e64 v101, v38, v101, s[40:41]                // 000000005804: D1000065 00A2CB26
	v_cmp_lt_u32_e64 s[40:41], v32, v53                        // 00000000580C: D0C90028 00026B20
	v_add_u32_e32 v32, 64, v32                                 // 000000005814: 684040C0
	s_nop 0                                                    // 000000005818: BF800000
	v_cndmask_b32_e64 v102, v38, v102, s[40:41]                // 00000000581C: D1000066 00A2CD26
	v_cmp_lt_u32_e64 s[40:41], v33, v53                        // 000000005824: D0C90028 00026B21
	v_add_u32_e32 v33, 64, v33                                 // 00000000582C: 684242C0
	s_nop 0                                                    // 000000005830: BF800000
	v_cndmask_b32_e64 v103, v38, v103, s[40:41]                // 000000005834: D1000067 00A2CF26
	v_cmp_lt_u32_e64 s[40:41], v30, v53                        // 00000000583C: D0C90028 00026B1E
	v_add_u32_e32 v30, 64, v30                                 // 000000005844: 683C3CC0
	s_nop 0                                                    // 000000005848: BF800000
	v_cndmask_b32_e64 v104, v38, v104, s[40:41]                // 00000000584C: D1000068 00A2D126
	v_cmp_lt_u32_e64 s[40:41], v31, v53                        // 000000005854: D0C90028 00026B1F
	v_add_u32_e32 v31, 64, v31                                 // 00000000585C: 683E3EC0
	s_nop 0                                                    // 000000005860: BF800000
	v_cndmask_b32_e64 v105, v38, v105, s[40:41]                // 000000005864: D1000069 00A2D326
	v_cmp_lt_u32_e64 s[40:41], v32, v53                        // 00000000586C: D0C90028 00026B20
	v_add_u32_e32 v32, 64, v32                                 // 000000005874: 684040C0
	s_nop 0                                                    // 000000005878: BF800000
	v_cndmask_b32_e64 v106, v38, v106, s[40:41]                // 00000000587C: D100006A 00A2D526
	v_cmp_lt_u32_e64 s[40:41], v33, v53                        // 000000005884: D0C90028 00026B21
	v_add_u32_e32 v33, 64, v33                                 // 00000000588C: 684242C0
	s_nop 0                                                    // 000000005890: BF800000
	v_cndmask_b32_e64 v107, v38, v107, s[40:41]                // 000000005894: D100006B 00A2D726
	v_cmp_lt_u32_e64 s[40:41], v30, v53                        // 00000000589C: D0C90028 00026B1E
	v_add_u32_e32 v30, 64, v30                                 // 0000000058A4: 683C3CC0
	s_nop 0                                                    // 0000000058A8: BF800000
	v_cndmask_b32_e64 v108, v38, v108, s[40:41]                // 0000000058AC: D100006C 00A2D926
	v_cmp_lt_u32_e64 s[40:41], v31, v53                        // 0000000058B4: D0C90028 00026B1F
	v_add_u32_e32 v31, 64, v31                                 // 0000000058BC: 683E3EC0
	s_nop 0                                                    // 0000000058C0: BF800000
	v_cndmask_b32_e64 v109, v38, v109, s[40:41]                // 0000000058C4: D100006D 00A2DB26
	v_cmp_lt_u32_e64 s[40:41], v32, v53                        // 0000000058CC: D0C90028 00026B20
	v_add_u32_e32 v32, 64, v32                                 // 0000000058D4: 684040C0
	s_nop 0                                                    // 0000000058D8: BF800000
	v_cndmask_b32_e64 v110, v38, v110, s[40:41]                // 0000000058DC: D100006E 00A2DD26
	v_cmp_lt_u32_e64 s[40:41], v33, v53                        // 0000000058E4: D0C90028 00026B21
	v_add_u32_e32 v33, 64, v33                                 // 0000000058EC: 684242C0
	s_nop 0                                                    // 0000000058F0: BF800000
	v_cndmask_b32_e64 v111, v38, v111, s[40:41]                // 0000000058F4: D100006F 00A2DF26
	s_nop 8                                                    // 0000000058FC: BF800008
	v_or_b32_dpp v96, v104, v96 row_shr:8 row_mask:0xf bank_mask:0xf bound_ctrl:1// 000000005900: 28C0C0FA FF091868
	v_or_b32_dpp v97, v105, v97 row_shr:8 row_mask:0xf bank_mask:0xf bound_ctrl:1// 000000005908: 28C2C2FA FF091869
	v_or_b32_dpp v98, v106, v98 row_shr:8 row_mask:0xf bank_mask:0xf bound_ctrl:1// 000000005910: 28C4C4FA FF09186A
	v_or_b32_dpp v99, v107, v99 row_shr:8 row_mask:0xf bank_mask:0xf bound_ctrl:1// 000000005918: 28C6C6FA FF09186B
	v_or_b32_dpp v100, v108, v100 row_shr:8 row_mask:0xf bank_mask:0xf bound_ctrl:1// 000000005920: 28C8C8FA FF09186C
	v_or_b32_dpp v101, v109, v101 row_shr:8 row_mask:0xf bank_mask:0xf bound_ctrl:1// 000000005928: 28CACAFA FF09186D
	v_or_b32_dpp v102, v110, v102 row_shr:8 row_mask:0xf bank_mask:0xf bound_ctrl:1// 000000005930: 28CCCCFA FF09186E
	v_or_b32_dpp v103, v111, v103 row_shr:8 row_mask:0xf bank_mask:0xf bound_ctrl:1// 000000005938: 28CECEFA FF09186F
	v_mov_b32_e32 v48, v96                                     // 000000005940: 7E600360
	v_max3_f32 v48, v96, v97, v48                              // 000000005944: D1D30030 04C2C360
	v_max3_f32 v48, v98, v99, v48                              // 00000000594C: D1D30030 04C2C762
	v_max3_f32 v48, v100, v101, v48                            // 000000005954: D1D30030 04C2CB64
	v_max3_f32 v48, v102, v103, v48                            // 00000000595C: D1D30030 04C2CF66
	ds_write_b32 v11, v48 offset:4224                          // 000000005964: D81A1080 0000300B
	s_waitcnt lgkmcnt(0)                                       // 00000000596C: BF8CC07F
	s_barrier                                                  // 000000005970: BF8A0000
	ds_read_b32 v64, v10 offset:4224                           // 000000005974: D86C1080 4000000A
	ds_read_b32 v65, v10 offset:4288                           // 00000000597C: D86C10C0 4100000A
	ds_read_b32 v66, v10 offset:4352                           // 000000005984: D86C1100 4200000A
	ds_read_b32 v67, v10 offset:4416                           // 00000000598C: D86C1140 4300000A
	ds_read_b32 v68, v10 offset:4480                           // 000000005994: D86C1180 4400000A
	ds_read_b32 v69, v10 offset:4544                           // 00000000599C: D86C11C0 4500000A
	ds_read_b32 v70, v10 offset:4608                           // 0000000059A4: D86C1200 4600000A
	ds_read_b32 v71, v10 offset:4672                           // 0000000059AC: D86C1240 4700000A
	ds_read_b32 v72, v10 offset:4736                           // 0000000059B4: D86C1280 4800000A
	ds_read_b32 v73, v10 offset:4800                           // 0000000059BC: D86C12C0 4900000A
	ds_read_b32 v74, v10 offset:4864                           // 0000000059C4: D86C1300 4A00000A
	ds_read_b32 v75, v10 offset:4928                           // 0000000059CC: D86C1340 4B00000A
	ds_read_b32 v76, v10 offset:4992                           // 0000000059D4: D86C1380 4C00000A
	ds_read_b32 v77, v10 offset:5056                           // 0000000059DC: D86C13C0 4D00000A
	ds_read_b32 v78, v10 offset:5120                           // 0000000059E4: D86C1400 4E00000A
	ds_read_b32 v79, v10 offset:5184                           // 0000000059EC: D86C1440 4F00000A
	s_waitcnt lgkmcnt(0)                                       // 0000000059F4: BF8CC07F
	v_max3_f32 v48, v64, v65, v48                              // 0000000059F8: D1D30030 04C28340
	v_max3_f32 v48, v66, v67, v48                              // 000000005A00: D1D30030 04C28742
	v_max3_f32 v48, v68, v69, v48                              // 000000005A08: D1D30030 04C28B44
	v_max3_f32 v48, v70, v71, v48                              // 000000005A10: D1D30030 04C28F46
	v_max3_f32 v48, v72, v73, v48                              // 000000005A18: D1D30030 04C29348
	v_max3_f32 v48, v74, v75, v48                              // 000000005A20: D1D30030 04C2974A
	v_max3_f32 v48, v76, v77, v48                              // 000000005A28: D1D30030 04C29B4C
	v_max3_f32 v48, v78, v79, v48                              // 000000005A30: D1D30030 04C29F4E
	v_cmp_eq_u32_e64 s[40:41], v52, v14                        // 000000005A38: D0CA0028 00021D34
	s_nop 1                                                    // 000000005A40: BF800001
	v_mov_b32_dpp v38, v48 row_ror:8 row_mask:0xf bank_mask:0xf// 000000005A44: 7E4C02FA FF012830
	v_max_f32_e32 v48, v48, v38                                // 000000005A4C: 16604D30
	v_max_f32_e32 v15, v48, v14                                // 000000005A50: 161E1D30
	v_sub_f32_e32 v49, v14, v15                                // 000000005A54: 04621F0E
	v_cndmask_b32_e64 v49, v49, 0, s[40:41]                    // 000000005A58: D1000031 00A10131
	v_mov_b32_e32 v14, v15                                     // 000000005A60: 7E1C030F
	v_mul_f32_e32 v50, s64, v15                                // 000000005A64: 0A641E40
	v_mul_f32_e32 v49, s64, v49                                // 000000005A68: 0A626240
	v_exp_f32_e32 v49, v49                                     // 000000005A6C: 7E624131
	v_fma_f32 v96, v96, s64, -v50                              // 000000005A70: D1CB0060 84C88160
	v_fma_f32 v97, v97, s64, -v50                              // 000000005A78: D1CB0061 84C88161
	v_fma_f32 v98, v98, s64, -v50                              // 000000005A80: D1CB0062 84C88162
	v_fma_f32 v99, v99, s64, -v50                              // 000000005A88: D1CB0063 84C88163
	v_fma_f32 v100, v100, s64, -v50                            // 000000005A90: D1CB0064 84C88164
	v_fma_f32 v101, v101, s64, -v50                            // 000000005A98: D1CB0065 84C88165
	v_fma_f32 v102, v102, s64, -v50                            // 000000005AA0: D1CB0066 84C88166
	v_fma_f32 v103, v103, s64, -v50                            // 000000005AA8: D1CB0067 84C88167
	v_exp_f32_e32 v96, v96                                     // 000000005AB0: 7EC04160
	v_exp_f32_e32 v97, v97                                     // 000000005AB4: 7EC24161
	v_exp_f32_e32 v98, v98                                     // 000000005AB8: 7EC44162
	v_exp_f32_e32 v99, v99                                     // 000000005ABC: 7EC64163
	v_exp_f32_e32 v100, v100                                   // 000000005AC0: 7EC84164
	v_exp_f32_e32 v101, v101                                   // 000000005AC4: 7ECA4165
	v_exp_f32_e32 v102, v102                                   // 000000005AC8: 7ECC4166
	v_exp_f32_e32 v103, v103                                   // 000000005ACC: 7ECE4167
	v_mul_f32_e32 v42, v49, v42                                // 000000005AD0: 0A545531
	v_mov_b32_e32 v43, v96                                     // 000000005AD4: 7E560360
	v_add_f32_e32 v43, v97, v43                                // 000000005AD8: 02565761
	v_add_f32_e32 v43, v98, v43                                // 000000005ADC: 02565762
	v_add_f32_e32 v43, v99, v43                                // 000000005AE0: 02565763
	v_add_f32_e32 v43, v100, v43                               // 000000005AE4: 02565764
	v_add_f32_e32 v43, v101, v43                               // 000000005AE8: 02565765
	v_add_f32_e32 v43, v102, v43                               // 000000005AEC: 02565766
	v_add_f32_e32 v43, v103, v43                               // 000000005AF0: 02565767
	v_add_f32_e32 v42, v43, v42                                // 000000005AF4: 0254552B
	v_cmp_u_f32_e64 s[40:41], v96, v96                         // 000000005AF8: D0480028 0002C160
	v_add3_u32 v18, v96, v21, 1                                // 000000005B00: D1FF0012 02062B60
	v_cndmask_b32_e64 v38, v18, v20, s[40:41]                  // 000000005B08: D1000026 00A22912
	v_cmp_u_f32_e64 s[40:41], v97, v97                         // 000000005B10: D0480028 0002C361
	v_add3_u32 v18, v97, v21, 1                                // 000000005B18: D1FF0012 02062B61
	v_cndmask_b32_e64 v39, v18, v20, s[40:41]                  // 000000005B20: D1000027 00A22912
	v_perm_b32 v96, v39, v38, s52                              // 000000005B28: D1ED0060 00D24D27
	v_cmp_u_f32_e64 s[40:41], v98, v98                         // 000000005B30: D0480028 0002C562
	v_add3_u32 v18, v98, v21, 1                                // 000000005B38: D1FF0012 02062B62
	v_cndmask_b32_e64 v38, v18, v20, s[40:41]                  // 000000005B40: D1000026 00A22912
	v_cmp_u_f32_e64 s[40:41], v99, v99                         // 000000005B48: D0480028 0002C763
	v_add3_u32 v18, v99, v21, 1                                // 000000005B50: D1FF0012 02062B63
	v_cndmask_b32_e64 v39, v18, v20, s[40:41]                  // 000000005B58: D1000027 00A22912
	v_perm_b32 v97, v39, v38, s52                              // 000000005B60: D1ED0061 00D24D27
	v_cmp_u_f32_e64 s[40:41], v100, v100                       // 000000005B68: D0480028 0002C964
	v_add3_u32 v18, v100, v21, 1                               // 000000005B70: D1FF0012 02062B64
	v_cndmask_b32_e64 v38, v18, v20, s[40:41]                  // 000000005B78: D1000026 00A22912
	v_cmp_u_f32_e64 s[40:41], v101, v101                       // 000000005B80: D0480028 0002CB65
	v_add3_u32 v18, v101, v21, 1                               // 000000005B88: D1FF0012 02062B65
	v_cndmask_b32_e64 v39, v18, v20, s[40:41]                  // 000000005B90: D1000027 00A22912
	v_perm_b32 v98, v39, v38, s52                              // 000000005B98: D1ED0062 00D24D27
	v_cmp_u_f32_e64 s[40:41], v102, v102                       // 000000005BA0: D0480028 0002CD66
	v_add3_u32 v18, v102, v21, 1                               // 000000005BA8: D1FF0012 02062B66
	v_cndmask_b32_e64 v38, v18, v20, s[40:41]                  // 000000005BB0: D1000026 00A22912
	v_cmp_u_f32_e64 s[40:41], v103, v103                       // 000000005BB8: D0480028 0002CF67
	v_add3_u32 v18, v103, v21, 1                               // 000000005BC0: D1FF0012 02062B67
	v_cndmask_b32_e64 v39, v18, v20, s[40:41]                  // 000000005BC8: D1000027 00A22912
	v_perm_b32 v99, v39, v38, s52                              // 000000005BD0: D1ED0063 00D24D27
	ds_write_b64 v13, v[96:97] offset:5248                     // 000000005BD8: D89A1480 0000600D
	ds_write_b64 v13, v[98:99] offset:7296                     // 000000005BE0: D89A1C80 0000620D
	s_waitcnt lgkmcnt(0)                                       // 000000005BE8: BF8CC07F
	s_barrier                                                  // 000000005BEC: BF8A0000
	ds_read_b64 v[96:97], v12 offset:5248                      // 000000005BF0: D8EC1480 6000000C
	ds_read_b64 v[98:99], v12 offset:5376                      // 000000005BF8: D8EC1500 6200000C
	ds_read_b64 v[100:101], v12 offset:6272                    // 000000005C00: D8EC1880 6400000C
	ds_read_b64 v[102:103], v12 offset:6400                    // 000000005C08: D8EC1900 6600000C
	ds_read_b64 v[104:105], v12 offset:7296                    // 000000005C10: D8EC1C80 6800000C
	ds_read_b64 v[106:107], v12 offset:7424                    // 000000005C18: D8EC1D00 6A00000C
	ds_read_b64 v[108:109], v12 offset:8320                    // 000000005C20: D8EC2080 6C00000C
	ds_read_b64 v[110:111], v12 offset:8448                    // 000000005C28: D8EC2100 6E00000C
	s_waitcnt lgkmcnt(0)                                       // 000000005C30: BF8CC07F
	v_mov_b32_dpp v112, v96 row_shl:8 row_mask:0xf bank_mask:0xf bound_ctrl:1// 000000005C34: 7EE002FA FF090860
	v_and_b32_e32 v96, v96, v9                                 // 000000005C3C: 26C01360
	v_mov_b32_dpp v113, v97 row_shl:8 row_mask:0xf bank_mask:0xf bound_ctrl:1// 000000005C40: 7EE202FA FF090861
	v_and_b32_e32 v97, v97, v9                                 // 000000005C48: 26C21361
	v_mov_b32_dpp v114, v98 row_shl:8 row_mask:0xf bank_mask:0xf bound_ctrl:1// 000000005C4C: 7EE402FA FF090862
	v_and_b32_e32 v98, v98, v9                                 // 000000005C54: 26C41362
	v_mov_b32_dpp v115, v99 row_shl:8 row_mask:0xf bank_mask:0xf bound_ctrl:1// 000000005C58: 7EE602FA FF090863
	v_and_b32_e32 v99, v99, v9                                 // 000000005C60: 26C61363
	v_mov_b32_dpp v116, v100 row_shl:8 row_mask:0xf bank_mask:0xf bound_ctrl:1// 000000005C64: 7EE802FA FF090864
	v_and_b32_e32 v100, v100, v9                               // 000000005C6C: 26C81364
	v_mov_b32_dpp v117, v101 row_shl:8 row_mask:0xf bank_mask:0xf bound_ctrl:1// 000000005C70: 7EEA02FA FF090865
	v_and_b32_e32 v101, v101, v9                               // 000000005C78: 26CA1365
	v_mov_b32_dpp v118, v102 row_shl:8 row_mask:0xf bank_mask:0xf bound_ctrl:1// 000000005C7C: 7EEC02FA FF090866
	v_and_b32_e32 v102, v102, v9                               // 000000005C84: 26CC1366
	v_mov_b32_dpp v119, v103 row_shl:8 row_mask:0xf bank_mask:0xf bound_ctrl:1// 000000005C88: 7EEE02FA FF090867
	v_and_b32_e32 v103, v103, v9                               // 000000005C90: 26CE1367
	v_mov_b32_dpp v120, v104 row_shl:8 row_mask:0xf bank_mask:0xf bound_ctrl:1// 000000005C94: 7EF002FA FF090868
	v_and_b32_e32 v104, v104, v9                               // 000000005C9C: 26D01368
	v_mov_b32_dpp v121, v105 row_shl:8 row_mask:0xf bank_mask:0xf bound_ctrl:1// 000000005CA0: 7EF202FA FF090869
	v_and_b32_e32 v105, v105, v9                               // 000000005CA8: 26D21369
	v_mov_b32_dpp v122, v106 row_shl:8 row_mask:0xf bank_mask:0xf bound_ctrl:1// 000000005CAC: 7EF402FA FF09086A
	v_and_b32_e32 v106, v106, v9                               // 000000005CB4: 26D4136A
	v_mov_b32_dpp v123, v107 row_shl:8 row_mask:0xf bank_mask:0xf bound_ctrl:1// 000000005CB8: 7EF602FA FF09086B
	v_and_b32_e32 v107, v107, v9                               // 000000005CC0: 26D6136B
	v_mov_b32_dpp v124, v108 row_shl:8 row_mask:0xf bank_mask:0xf bound_ctrl:1// 000000005CC4: 7EF802FA FF09086C
	v_and_b32_e32 v108, v108, v9                               // 000000005CCC: 26D8136C
	v_mov_b32_dpp v125, v109 row_shl:8 row_mask:0xf bank_mask:0xf bound_ctrl:1// 000000005CD0: 7EFA02FA FF09086D
	v_and_b32_e32 v109, v109, v9                               // 000000005CD8: 26DA136D
	v_mov_b32_dpp v126, v110 row_shl:8 row_mask:0xf bank_mask:0xf bound_ctrl:1// 000000005CDC: 7EFC02FA FF09086E
	v_and_b32_e32 v110, v110, v9                               // 000000005CE4: 26DC136E
	v_mov_b32_dpp v127, v111 row_shl:8 row_mask:0xf bank_mask:0xf bound_ctrl:1// 000000005CE8: 7EFE02FA FF09086F
	v_and_b32_e32 v111, v111, v9                               // 000000005CF0: 26DE136F
	v_mul_f32_e32 v128, v49, v128                              // 000000005CF4: 0B010131
	v_mul_f32_e32 v129, v49, v129                              // 000000005CF8: 0B030331
	v_mul_f32_e32 v130, v49, v130                              // 000000005CFC: 0B050531
	v_mul_f32_e32 v131, v49, v131                              // 000000005D00: 0B070731
	v_mul_f32_e32 v132, v49, v132                              // 000000005D04: 0B090931
	v_mul_f32_e32 v133, v49, v133                              // 000000005D08: 0B0B0B31
	v_mul_f32_e32 v134, v49, v134                              // 000000005D0C: 0B0D0D31
	v_mul_f32_e32 v135, v49, v135                              // 000000005D10: 0B0F0F31
	s_waitcnt vmcnt(0)                                         // 000000005D14: BF8C0F70
	s_barrier                                                  // 000000005D18: BF8A0000
	v_mfma_f32_16x16x16_bf16 v[128:131], a[192:193], v[96:97], v[128:131]// 000000005D1C: D3E10080 0E02C1C0
	v_mfma_f32_16x16x16_bf16 v[128:131], a[194:195], v[98:99], v[128:131]// 000000005D24: D3E10080 0E02C5C2
	v_mfma_f32_16x16x16_bf16 v[128:131], a[196:197], v[100:101], v[128:131]// 000000005D2C: D3E10080 0E02C9C4
	v_mfma_f32_16x16x16_bf16 v[128:131], a[198:199], v[102:103], v[128:131]// 000000005D34: D3E10080 0E02CDC6
	v_mfma_f32_16x16x16_bf16 v[128:131], a[200:201], v[104:105], v[128:131]// 000000005D3C: D3E10080 0E02D1C8
	v_mfma_f32_16x16x16_bf16 v[128:131], a[202:203], v[106:107], v[128:131]// 000000005D44: D3E10080 0E02D5CA
	v_mfma_f32_16x16x16_bf16 v[128:131], a[204:205], v[108:109], v[128:131]// 000000005D4C: D3E10080 0E02D9CC
	v_mfma_f32_16x16x16_bf16 v[128:131], a[206:207], v[110:111], v[128:131]// 000000005D54: D3E10080 0E02DDCE
	v_mfma_f32_16x16x16_bf16 v[128:131], a[208:209], v[112:113], v[128:131]// 000000005D5C: D3E10080 0E02E1D0
	v_mfma_f32_16x16x16_bf16 v[128:131], a[210:211], v[114:115], v[128:131]// 000000005D64: D3E10080 0E02E5D2
	v_mfma_f32_16x16x16_bf16 v[128:131], a[212:213], v[116:117], v[128:131]// 000000005D6C: D3E10080 0E02E9D4
	v_mfma_f32_16x16x16_bf16 v[128:131], a[214:215], v[118:119], v[128:131]// 000000005D74: D3E10080 0E02EDD6
	v_mfma_f32_16x16x16_bf16 v[128:131], a[216:217], v[120:121], v[128:131]// 000000005D7C: D3E10080 0E02F1D8
	v_mfma_f32_16x16x16_bf16 v[128:131], a[218:219], v[122:123], v[128:131]// 000000005D84: D3E10080 0E02F5DA
	v_mfma_f32_16x16x16_bf16 v[128:131], a[220:221], v[124:125], v[128:131]// 000000005D8C: D3E10080 0E02F9DC
	v_mfma_f32_16x16x16_bf16 v[128:131], a[222:223], v[126:127], v[128:131]// 000000005D94: D3E10080 0E02FDDE
	v_mfma_f32_16x16x16_bf16 v[132:135], a[224:225], v[96:97], v[132:135]// 000000005D9C: D3E10084 0E12C1E0
	v_mfma_f32_16x16x16_bf16 v[132:135], a[226:227], v[98:99], v[132:135]// 000000005DA4: D3E10084 0E12C5E2
	v_mfma_f32_16x16x16_bf16 v[132:135], a[228:229], v[100:101], v[132:135]// 000000005DAC: D3E10084 0E12C9E4
	v_mfma_f32_16x16x16_bf16 v[132:135], a[230:231], v[102:103], v[132:135]// 000000005DB4: D3E10084 0E12CDE6
	v_mfma_f32_16x16x16_bf16 v[132:135], a[232:233], v[104:105], v[132:135]// 000000005DBC: D3E10084 0E12D1E8
	v_mfma_f32_16x16x16_bf16 v[132:135], a[234:235], v[106:107], v[132:135]// 000000005DC4: D3E10084 0E12D5EA
	v_mfma_f32_16x16x16_bf16 v[132:135], a[236:237], v[108:109], v[132:135]// 000000005DCC: D3E10084 0E12D9EC
	v_mfma_f32_16x16x16_bf16 v[132:135], a[238:239], v[110:111], v[132:135]// 000000005DD4: D3E10084 0E12DDEE
	v_mfma_f32_16x16x16_bf16 v[132:135], a[240:241], v[112:113], v[132:135]// 000000005DDC: D3E10084 0E12E1F0
	v_mfma_f32_16x16x16_bf16 v[132:135], a[242:243], v[114:115], v[132:135]// 000000005DE4: D3E10084 0E12E5F2
	v_mfma_f32_16x16x16_bf16 v[132:135], a[244:245], v[116:117], v[132:135]// 000000005DEC: D3E10084 0E12E9F4
	v_mfma_f32_16x16x16_bf16 v[132:135], a[246:247], v[118:119], v[132:135]// 000000005DF4: D3E10084 0E12EDF6
	v_mfma_f32_16x16x16_bf16 v[132:135], a[248:249], v[120:121], v[132:135]// 000000005DFC: D3E10084 0E12F1F8
	v_mfma_f32_16x16x16_bf16 v[132:135], a[250:251], v[122:123], v[132:135]// 000000005E04: D3E10084 0E12F5FA
	v_mfma_f32_16x16x16_bf16 v[132:135], a[252:253], v[124:125], v[132:135]// 000000005E0C: D3E10084 0E12F9FC
	v_mfma_f32_16x16x16_bf16 v[132:135], a[254:255], v[126:127], v[132:135]// 000000005E14: D3E10084 0E12FDFE
	s_nop 8                                                    // 000000005E1C: BF800008
	s_branch label_0F0A                                        // 000000005E20: BF820000

0000000000005e24 <label_0F0A>:
	ds_write_b32 v11, v42 offset:4224                          // 000000005E24: D81A1080 00002A0B
	s_waitcnt lgkmcnt(0)                                       // 000000005E2C: BF8CC07F
	s_barrier                                                  // 000000005E30: BF8A0000
	ds_read_b32 v64, v10 offset:4224                           // 000000005E34: D86C1080 4000000A
	ds_read_b32 v65, v10 offset:4288                           // 000000005E3C: D86C10C0 4100000A
	ds_read_b32 v66, v10 offset:4352                           // 000000005E44: D86C1100 4200000A
	ds_read_b32 v67, v10 offset:4416                           // 000000005E4C: D86C1140 4300000A
	ds_read_b32 v68, v10 offset:4480                           // 000000005E54: D86C1180 4400000A
	ds_read_b32 v69, v10 offset:4544                           // 000000005E5C: D86C11C0 4500000A
	ds_read_b32 v70, v10 offset:4608                           // 000000005E64: D86C1200 4600000A
	ds_read_b32 v71, v10 offset:4672                           // 000000005E6C: D86C1240 4700000A
	ds_read_b32 v72, v10 offset:4736                           // 000000005E74: D86C1280 4800000A
	ds_read_b32 v73, v10 offset:4800                           // 000000005E7C: D86C12C0 4900000A
	ds_read_b32 v74, v10 offset:4864                           // 000000005E84: D86C1300 4A00000A
	ds_read_b32 v75, v10 offset:4928                           // 000000005E8C: D86C1340 4B00000A
	ds_read_b32 v76, v10 offset:4992                           // 000000005E94: D86C1380 4C00000A
	ds_read_b32 v77, v10 offset:5056                           // 000000005E9C: D86C13C0 4D00000A
	ds_read_b32 v78, v10 offset:5120                           // 000000005EA4: D86C1400 4E00000A
	ds_read_b32 v79, v10 offset:5184                           // 000000005EAC: D86C1440 4F00000A
	s_waitcnt lgkmcnt(0)                                       // 000000005EB4: BF8CC07F
	v_mov_b32_e32 v42, 0                                       // 000000005EB8: 7E540280
	v_add_f32_e32 v42, v64, v42                                // 000000005EBC: 02545540
	v_add_f32_e32 v42, v65, v42                                // 000000005EC0: 02545541
	v_add_f32_e32 v42, v66, v42                                // 000000005EC4: 02545542
	v_add_f32_e32 v42, v67, v42                                // 000000005EC8: 02545543
	v_add_f32_e32 v42, v68, v42                                // 000000005ECC: 02545544
	v_add_f32_e32 v42, v69, v42                                // 000000005ED0: 02545545
	v_add_f32_e32 v42, v70, v42                                // 000000005ED4: 02545546
	v_add_f32_e32 v42, v71, v42                                // 000000005ED8: 02545547
	v_add_f32_e32 v42, v72, v42                                // 000000005EDC: 02545548
	v_add_f32_e32 v42, v73, v42                                // 000000005EE0: 02545549
	v_add_f32_e32 v42, v74, v42                                // 000000005EE4: 0254554A
	v_add_f32_e32 v42, v75, v42                                // 000000005EE8: 0254554B
	v_add_f32_e32 v42, v76, v42                                // 000000005EEC: 0254554C
	v_add_f32_e32 v42, v77, v42                                // 000000005EF0: 0254554D
	v_add_f32_e32 v42, v78, v42                                // 000000005EF4: 0254554E
	v_add_f32_e32 v42, v79, v42                                // 000000005EF8: 0254554F
	s_nop 1                                                    // 000000005EFC: BF800001
	v_mov_b32_dpp v38, v42 row_ror:8 row_mask:0xf bank_mask:0xf// 000000005F00: 7E4C02FA FF01282A
	v_add_f32_e32 v42, v42, v38                                // 000000005F08: 02544D2A
	v_rcp_f32_e32 v42, v42                                     // 000000005F0C: 7E54452A
	s_nop 1                                                    // 000000005F10: BF800001
	v_mul_f32_e32 v128, v42, v128                              // 000000005F14: 0B01012A
	v_mul_f32_e32 v129, v42, v129                              // 000000005F18: 0B03032A
	v_mul_f32_e32 v130, v42, v130                              // 000000005F1C: 0B05052A
	v_mul_f32_e32 v131, v42, v131                              // 000000005F20: 0B07072A
	v_mul_f32_e32 v132, v42, v132                              // 000000005F24: 0B09092A
	v_mul_f32_e32 v133, v42, v133                              // 000000005F28: 0B0B0B2A
	v_mul_f32_e32 v134, v42, v134                              // 000000005F2C: 0B0D0D2A
	v_mul_f32_e32 v135, v42, v135                              // 000000005F30: 0B0F0F2A
	v_cmp_u_f32_e64 s[40:41], v128, v128                       // 000000005F34: D0480028 00030180
	v_add3_u32 v18, v128, v21, 1                               // 000000005F3C: D1FF0012 02062B80
	v_cndmask_b32_e64 v38, v18, v20, s[40:41]                  // 000000005F44: D1000026 00A22912
	v_cmp_u_f32_e64 s[40:41], v129, v129                       // 000000005F4C: D0480028 00030381
	v_add3_u32 v18, v129, v21, 1                               // 000000005F54: D1FF0012 02062B81
	v_cndmask_b32_e64 v39, v18, v20, s[40:41]                  // 000000005F5C: D1000027 00A22912
	v_perm_b32 v128, v39, v38, s52                             // 000000005F64: D1ED0080 00D24D27
	v_cmp_u_f32_e64 s[40:41], v130, v130                       // 000000005F6C: D0480028 00030582
	v_add3_u32 v18, v130, v21, 1                               // 000000005F74: D1FF0012 02062B82
	v_cndmask_b32_e64 v38, v18, v20, s[40:41]                  // 000000005F7C: D1000026 00A22912
	v_cmp_u_f32_e64 s[40:41], v131, v131                       // 000000005F84: D0480028 00030783
	v_add3_u32 v18, v131, v21, 1                               // 000000005F8C: D1FF0012 02062B83
	v_cndmask_b32_e64 v39, v18, v20, s[40:41]                  // 000000005F94: D1000027 00A22912
	v_perm_b32 v129, v39, v38, s52                             // 000000005F9C: D1ED0081 00D24D27
	v_cmp_u_f32_e64 s[40:41], v132, v132                       // 000000005FA4: D0480028 00030984
	v_add3_u32 v18, v132, v21, 1                               // 000000005FAC: D1FF0012 02062B84
	v_cndmask_b32_e64 v38, v18, v20, s[40:41]                  // 000000005FB4: D1000026 00A22912
	v_cmp_u_f32_e64 s[40:41], v133, v133                       // 000000005FBC: D0480028 00030B85
	v_add3_u32 v18, v133, v21, 1                               // 000000005FC4: D1FF0012 02062B85
	v_cndmask_b32_e64 v39, v18, v20, s[40:41]                  // 000000005FCC: D1000027 00A22912
	v_perm_b32 v130, v39, v38, s52                             // 000000005FD4: D1ED0082 00D24D27
	v_cmp_u_f32_e64 s[40:41], v134, v134                       // 000000005FDC: D0480028 00030D86
	v_add3_u32 v18, v134, v21, 1                               // 000000005FE4: D1FF0012 02062B86
	v_cndmask_b32_e64 v38, v18, v20, s[40:41]                  // 000000005FEC: D1000026 00A22912
	v_cmp_u_f32_e64 s[40:41], v135, v135                       // 000000005FF4: D0480028 00030F87
	v_add3_u32 v18, v135, v21, 1                               // 000000005FFC: D1FF0012 02062B87
	v_cndmask_b32_e64 v39, v18, v20, s[40:41]                  // 000000006004: D1000027 00A22912
	v_perm_b32 v131, v39, v38, s52                             // 00000000600C: D1ED0083 00D24D27
	v_lshrrev_b32_e32 v38, 4, v0                               // 000000006014: 204C0084
	v_mul_i32_i24_e32 v5, 34, v38                              // 000000006018: 0C0A4CA2
	v_and_b32_e32 v38, 15, v0                                  // 00000000601C: 264C008F
	v_mul_i32_i24_e32 v39, 2, v38                              // 000000006020: 0C4E4C82
	v_add_u32_e32 v5, v39, v5                                  // 000000006024: 680A0B27
	s_mul_i32 s60, s7, 0x88                                    // 000000006028: 923CFF07 00000088
	v_add_u32_e32 v5, s60, v5                                  // 000000006030: 680A0A3C
	v_lshlrev_b32_e32 v5, 2, v5                                // 000000006034: 240A0A82
	ds_write_b64 v5, v[128:129] offset:13440                   // 000000006038: D89A3480 00008005
	ds_write_b64 v5, v[130:131] offset:15616                   // 000000006040: D89A3D00 00008205
	v_lshrrev_b32_e32 v38, 1, v0                               // 000000006048: 204C0081
	v_mul_i32_i24_e32 v5, 34, v38                              // 00000000604C: 0C0A4CA2
	v_and_b32_e32 v39, 1, v0                                   // 000000006050: 264E0081
	v_add_u32_e32 v5, v39, v5                                  // 000000006054: 680A0B27
	s_mul_i32 s60, s7, 2                                       // 000000006058: 923C8207
	v_add_u32_e32 v5, s60, v5                                  // 00000000605C: 680A0A3C
	v_lshlrev_b32_e32 v5, 2, v5                                // 000000006060: 240A0A82
	s_waitcnt lgkmcnt(0)                                       // 000000006064: BF8CC07F
	s_barrier                                                  // 000000006068: BF8A0000
	ds_read_b32 v128, v5 offset:13440                          // 00000000606C: D86C3480 80000005
	ds_read_b32 v129, v5 offset:13472                          // 000000006074: D86C34A0 81000005
	s_waitcnt lgkmcnt(0)                                       // 00000000607C: BF8CC07F
	buffer_store_dword v128, v8, s[8:11], 0 offen              // 000000006080: E0701000 80028008
	buffer_store_dword v129, v8, s[8:11], 0 offen offset:1024  // 000000006088: E0701400 80028108
	s_waitcnt vmcnt(0) expcnt(0) lgkmcnt(0)                    // 000000006090: BF8C0000
	s_endpgm                                                   // 000000006094: BF810000
